;; amdgpu-corpus repo=ROCm/rocFFT kind=compiled arch=gfx1030 opt=O3
	.text
	.amdgcn_target "amdgcn-amd-amdhsa--gfx1030"
	.amdhsa_code_object_version 6
	.protected	bluestein_single_fwd_len975_dim1_half_op_CI_CI ; -- Begin function bluestein_single_fwd_len975_dim1_half_op_CI_CI
	.globl	bluestein_single_fwd_len975_dim1_half_op_CI_CI
	.p2align	8
	.type	bluestein_single_fwd_len975_dim1_half_op_CI_CI,@function
bluestein_single_fwd_len975_dim1_half_op_CI_CI: ; @bluestein_single_fwd_len975_dim1_half_op_CI_CI
; %bb.0:
	s_load_dwordx4 s[12:15], s[4:5], 0x28
	v_mul_u32_u24_e32 v1, 0x691, v0
	s_mov_b32 s0, exec_lo
	v_lshrrev_b32_e32 v1, 16, v1
	v_mad_u64_u32 v[46:47], null, s6, 3, v[1:2]
	v_mov_b32_e32 v47, 0
	s_waitcnt lgkmcnt(0)
	v_cmpx_gt_u64_e64 s[12:13], v[46:47]
	s_cbranch_execz .LBB0_23
; %bb.1:
	s_clause 0x1
	s_load_dwordx4 s[8:11], s[4:5], 0x18
	s_load_dwordx2 s[6:7], s[4:5], 0x0
	v_mul_lo_u16 v1, v1, 39
	s_mov_b32 s12, 0
	v_sub_nc_u16 v7, v0, v1
	v_and_b32_e32 v44, 0xffff, v7
	v_lshlrev_b32_e32 v78, 2, v44
	s_waitcnt lgkmcnt(0)
	s_load_dwordx4 s[0:3], s[8:9], 0x0
	s_waitcnt lgkmcnt(0)
	v_mad_u64_u32 v[0:1], null, s2, v46, 0
	v_mad_u64_u32 v[2:3], null, s0, v44, 0
	s_mul_hi_u32 s8, s0, 0x4b
	s_mul_i32 s2, s0, 0x4b
	v_mad_u64_u32 v[4:5], null, s3, v46, v[1:2]
	s_mul_i32 s3, s1, 0x4b
	s_add_i32 s3, s8, s3
	v_add_co_u32 v42, s8, s6, v78
	s_lshl_b64 s[2:3], s[2:3], 2
	v_mad_u64_u32 v[5:6], null, s1, v44, v[3:4]
	v_mov_b32_e32 v1, v4
	v_add_co_ci_u32_e64 v43, null, s7, 0, s8
	v_lshlrev_b64 v[0:1], 2, v[0:1]
	v_mov_b32_e32 v3, v5
	v_add_co_u32 v0, vcc_lo, s14, v0
	v_lshlrev_b64 v[2:3], 2, v[2:3]
	v_add_co_ci_u32_e32 v1, vcc_lo, s15, v1, vcc_lo
	v_add_co_u32 v0, vcc_lo, v0, v2
	v_add_co_ci_u32_e32 v1, vcc_lo, v1, v3, vcc_lo
	v_add_co_u32 v2, vcc_lo, v0, s2
	;; [unrolled: 2-line block ×3, first 2 shown]
	v_add_co_ci_u32_e32 v5, vcc_lo, s3, v3, vcc_lo
	global_load_dword v6, v[0:1], off
	global_load_dword v103, v78, s[6:7]
	s_clause 0x1
	global_load_dword v8, v[2:3], off
	global_load_dword v9, v[4:5], off
	v_add_co_u32 v0, vcc_lo, v4, s2
	v_add_co_ci_u32_e32 v1, vcc_lo, s3, v5, vcc_lo
	s_clause 0x5
	global_load_dword v102, v78, s[6:7] offset:300
	global_load_dword v101, v78, s[6:7] offset:600
	;; [unrolled: 1-line block ×6, first 2 shown]
	v_add_co_u32 v2, vcc_lo, v0, s2
	v_add_co_ci_u32_e32 v3, vcc_lo, s3, v1, vcc_lo
	global_load_dword v4, v[0:1], off
	s_load_dwordx2 s[6:7], s[4:5], 0x38
	global_load_dword v5, v[2:3], off
	v_add_co_u32 v0, vcc_lo, v2, s2
	v_add_co_ci_u32_e32 v1, vcc_lo, s3, v3, vcc_lo
	v_add_co_u32 v2, vcc_lo, v0, s2
	v_add_co_ci_u32_e32 v3, vcc_lo, s3, v1, vcc_lo
	global_load_dword v10, v[0:1], off
	v_add_co_u32 v0, vcc_lo, v2, s2
	v_add_co_ci_u32_e32 v1, vcc_lo, s3, v3, vcc_lo
	v_add_co_u32 v40, vcc_lo, 0x800, v42
	v_add_co_ci_u32_e32 v41, vcc_lo, 0, v43, vcc_lo
	global_load_dword v11, v[2:3], off
	global_load_dword v12, v[0:1], off
	v_add_co_u32 v0, vcc_lo, v0, s2
	v_add_co_ci_u32_e32 v1, vcc_lo, s3, v1, vcc_lo
	s_clause 0x2
	global_load_dword v96, v[40:41], off offset:52
	global_load_dword v95, v[40:41], off offset:352
	;; [unrolled: 1-line block ×3, first 2 shown]
	v_add_co_u32 v2, vcc_lo, v0, s2
	v_add_co_ci_u32_e32 v3, vcc_lo, s3, v1, vcc_lo
	global_load_dword v13, v[0:1], off
	v_add_co_u32 v0, vcc_lo, v2, s2
	v_add_co_ci_u32_e32 v1, vcc_lo, s3, v3, vcc_lo
	global_load_dword v14, v[2:3], off
	;; [unrolled: 3-line block ×3, first 2 shown]
	v_add_co_u32 v0, vcc_lo, v2, s2
	v_add_co_ci_u32_e32 v1, vcc_lo, s3, v3, vcc_lo
	global_load_dword v93, v[40:41], off offset:952
	global_load_dword v16, v[2:3], off
	global_load_dword v17, v[0:1], off
	s_clause 0x1
	global_load_dword v92, v[40:41], off offset:1252
	global_load_dword v91, v[40:41], off offset:1552
	v_mul_hi_u32 v2, 0xaaaaaaab, v46
	s_load_dwordx4 s[8:11], s[10:11], 0x0
	v_cmp_gt_u16_e32 vcc_lo, 36, v7
	v_lshrrev_b32_e32 v2, 1, v2
	v_lshl_add_u32 v2, v2, 1, v2
	v_sub_nc_u32_e32 v2, v46, v2
	v_mul_u32_u24_e32 v79, 0x3cf, v2
	v_lshlrev_b32_e32 v104, 2, v79
	v_add_nc_u32_e32 v90, v78, v104
	v_add_nc_u32_e32 v2, 0x400, v90
	;; [unrolled: 1-line block ×3, first 2 shown]
	s_waitcnt vmcnt(25)
	v_lshrrev_b32_e32 v18, 16, v6
	s_waitcnt vmcnt(24)
	v_mul_f16_sdwa v19, v103, v6 dst_sel:DWORD dst_unused:UNUSED_PAD src0_sel:WORD_1 src1_sel:DWORD
	s_waitcnt vmcnt(23)
	v_lshrrev_b32_e32 v21, 16, v8
	s_waitcnt vmcnt(21)
	v_mul_f16_sdwa v22, v102, v8 dst_sel:DWORD dst_unused:UNUSED_PAD src0_sel:WORD_1 src1_sel:DWORD
	v_mul_f16_sdwa v20, v103, v18 dst_sel:DWORD dst_unused:UNUSED_PAD src0_sel:WORD_1 src1_sel:DWORD
	v_fma_f16 v18, v103, v18, -v19
	v_lshrrev_b32_e32 v19, 16, v9
	v_fmac_f16_e32 v20, v103, v6
	v_mul_f16_sdwa v6, v102, v21 dst_sel:DWORD dst_unused:UNUSED_PAD src0_sel:WORD_1 src1_sel:DWORD
	v_fma_f16 v21, v102, v21, -v22
	s_waitcnt vmcnt(20)
	v_mul_f16_sdwa v22, v101, v9 dst_sel:DWORD dst_unused:UNUSED_PAD src0_sel:WORD_1 src1_sel:DWORD
	s_waitcnt vmcnt(15)
	v_mul_f16_sdwa v23, v100, v4 dst_sel:DWORD dst_unused:UNUSED_PAD src0_sel:WORD_1 src1_sel:DWORD
	v_pack_b32_f16 v18, v20, v18
	v_fmac_f16_e32 v6, v102, v8
	v_mul_f16_sdwa v8, v101, v19 dst_sel:DWORD dst_unused:UNUSED_PAD src0_sel:WORD_1 src1_sel:DWORD
	v_lshrrev_b32_e32 v20, 16, v4
	v_fma_f16 v19, v101, v19, -v22
	s_waitcnt vmcnt(14)
	v_mul_f16_sdwa v22, v99, v5 dst_sel:DWORD dst_unused:UNUSED_PAD src0_sel:WORD_1 src1_sel:DWORD
	v_pack_b32_f16 v6, v6, v21
	v_fmac_f16_e32 v8, v101, v9
	v_mul_f16_sdwa v9, v100, v20 dst_sel:DWORD dst_unused:UNUSED_PAD src0_sel:WORD_1 src1_sel:DWORD
	v_lshrrev_b32_e32 v21, 16, v5
	v_fma_f16 v20, v100, v20, -v23
	ds_write2_b32 v90, v18, v6 offset1:75
	v_pack_b32_f16 v6, v8, v19
	v_fmac_f16_e32 v9, v100, v4
	v_mul_f16_sdwa v4, v99, v21 dst_sel:DWORD dst_unused:UNUSED_PAD src0_sel:WORD_1 src1_sel:DWORD
	s_waitcnt vmcnt(13)
	v_lshrrev_b32_e32 v8, 16, v10
	v_mul_f16_sdwa v18, v98, v10 dst_sel:DWORD dst_unused:UNUSED_PAD src0_sel:WORD_1 src1_sel:DWORD
	v_fma_f16 v19, v99, v21, -v22
	v_pack_b32_f16 v9, v9, v20
	v_fmac_f16_e32 v4, v99, v5
	v_mul_f16_sdwa v5, v98, v8 dst_sel:DWORD dst_unused:UNUSED_PAD src0_sel:WORD_1 src1_sel:DWORD
	v_fma_f16 v8, v98, v8, -v18
	s_waitcnt vmcnt(12)
	v_lshrrev_b32_e32 v18, 16, v11
	ds_write2_b32 v90, v6, v9 offset0:150 offset1:225
	s_waitcnt vmcnt(11)
	v_lshrrev_b32_e32 v9, 16, v12
	v_fmac_f16_e32 v5, v98, v10
	s_waitcnt vmcnt(10)
	v_mul_f16_sdwa v10, v96, v12 dst_sel:DWORD dst_unused:UNUSED_PAD src0_sel:WORD_1 src1_sel:DWORD
	v_pack_b32_f16 v4, v4, v19
	v_mul_f16_sdwa v6, v97, v18 dst_sel:DWORD dst_unused:UNUSED_PAD src0_sel:WORD_1 src1_sel:DWORD
	v_mul_f16_sdwa v20, v97, v11 dst_sel:DWORD dst_unused:UNUSED_PAD src0_sel:WORD_1 src1_sel:DWORD
	v_pack_b32_f16 v5, v5, v8
	v_mul_f16_sdwa v8, v96, v9 dst_sel:DWORD dst_unused:UNUSED_PAD src0_sel:WORD_1 src1_sel:DWORD
	v_fma_f16 v9, v96, v9, -v10
	s_waitcnt vmcnt(7)
	v_lshrrev_b32_e32 v10, 16, v13
	v_fmac_f16_e32 v6, v97, v11
	v_mul_f16_sdwa v11, v95, v13 dst_sel:DWORD dst_unused:UNUSED_PAD src0_sel:WORD_1 src1_sel:DWORD
	ds_write2_b32 v2, v4, v5 offset0:44 offset1:119
	v_fmac_f16_e32 v8, v96, v12
	v_mul_f16_sdwa v4, v95, v10 dst_sel:DWORD dst_unused:UNUSED_PAD src0_sel:WORD_1 src1_sel:DWORD
	s_waitcnt vmcnt(6)
	v_lshrrev_b32_e32 v5, 16, v14
	v_fma_f16 v10, v95, v10, -v11
	v_mul_f16_sdwa v11, v94, v14 dst_sel:DWORD dst_unused:UNUSED_PAD src0_sel:WORD_1 src1_sel:DWORD
	v_pack_b32_f16 v8, v8, v9
	v_fmac_f16_e32 v4, v95, v13
	v_mul_f16_sdwa v9, v94, v5 dst_sel:DWORD dst_unused:UNUSED_PAD src0_sel:WORD_1 src1_sel:DWORD
	s_waitcnt vmcnt(5)
	v_lshrrev_b32_e32 v12, 16, v15
	v_fma_f16 v5, v94, v5, -v11
	s_waitcnt vmcnt(4)
	v_mul_f16_sdwa v11, v93, v15 dst_sel:DWORD dst_unused:UNUSED_PAD src0_sel:WORD_1 src1_sel:DWORD
	v_pack_b32_f16 v10, v4, v10
	v_fmac_f16_e32 v9, v94, v14
	s_waitcnt vmcnt(3)
	v_lshrrev_b32_e32 v4, 16, v16
	v_fma_f16 v18, v97, v18, -v20
	s_waitcnt vmcnt(2)
	v_lshrrev_b32_e32 v14, 16, v17
	v_mul_f16_sdwa v13, v93, v12 dst_sel:DWORD dst_unused:UNUSED_PAD src0_sel:WORD_1 src1_sel:DWORD
	v_fma_f16 v11, v93, v12, -v11
	s_waitcnt vmcnt(1)
	v_mul_f16_sdwa v12, v92, v16 dst_sel:DWORD dst_unused:UNUSED_PAD src0_sel:WORD_1 src1_sel:DWORD
	v_pack_b32_f16 v9, v9, v5
	v_mul_f16_sdwa v5, v92, v4 dst_sel:DWORD dst_unused:UNUSED_PAD src0_sel:WORD_1 src1_sel:DWORD
	v_pack_b32_f16 v6, v6, v18
	s_waitcnt vmcnt(0)
	v_mul_f16_sdwa v18, v91, v14 dst_sel:DWORD dst_unused:UNUSED_PAD src0_sel:WORD_1 src1_sel:DWORD
	v_mul_f16_sdwa v19, v91, v17 dst_sel:DWORD dst_unused:UNUSED_PAD src0_sel:WORD_1 src1_sel:DWORD
	v_fma_f16 v12, v92, v4, -v12
	v_fmac_f16_e32 v5, v92, v16
	v_fmac_f16_e32 v13, v93, v15
	;; [unrolled: 1-line block ×3, first 2 shown]
	v_fma_f16 v14, v91, v14, -v19
	v_add_nc_u32_e32 v4, 0x800, v90
	v_pack_b32_f16 v12, v5, v12
	v_add_nc_u32_e32 v5, 0xa00, v90
	v_pack_b32_f16 v11, v13, v11
	v_pack_b32_f16 v13, v18, v14
	ds_write2_b32 v3, v6, v8 offset0:66 offset1:141
	ds_write2_b32 v4, v10, v9 offset0:88 offset1:163
	ds_write2_b32 v5, v11, v12 offset0:110 offset1:185
	ds_write_b32 v90, v13 offset:3600
	s_and_saveexec_b32 s13, vcc_lo
	s_cbranch_execz .LBB0_3
; %bb.2:
	v_mad_u64_u32 v[0:1], null, 0xfffff28c, s0, v[0:1]
	s_mulk_i32 s1, 0xf28c
	v_add_nc_u32_e32 v34, 0x200, v90
	s_sub_i32 s0, s1, s0
	v_add_nc_u32_e32 v1, s0, v1
	v_add_co_u32 v6, s0, v0, s2
	v_add_co_ci_u32_e64 v7, s0, s3, v1, s0
	global_load_dword v8, v[0:1], off
	v_add_co_u32 v0, s0, v6, s2
	v_add_co_ci_u32_e64 v1, s0, s3, v7, s0
	s_clause 0x1
	global_load_dword v9, v[42:43], off offset:156
	global_load_dword v10, v[42:43], off offset:456
	global_load_dword v11, v[6:7], off
	global_load_dword v12, v[0:1], off
	v_add_co_u32 v0, s0, v0, s2
	v_add_co_ci_u32_e64 v1, s0, s3, v1, s0
	s_clause 0x2
	global_load_dword v13, v[42:43], off offset:756
	global_load_dword v14, v[42:43], off offset:1056
	;; [unrolled: 1-line block ×3, first 2 shown]
	v_add_co_u32 v6, s0, v0, s2
	v_add_co_ci_u32_e64 v7, s0, s3, v1, s0
	global_load_dword v16, v[0:1], off
	v_add_co_u32 v0, s0, v6, s2
	v_add_co_ci_u32_e64 v1, s0, s3, v7, s0
	global_load_dword v17, v[6:7], off
	v_add_co_u32 v6, s0, v0, s2
	v_add_co_ci_u32_e64 v7, s0, s3, v1, s0
	s_clause 0x1
	global_load_dword v18, v[42:43], off offset:1656
	global_load_dword v19, v[42:43], off offset:1956
	global_load_dword v20, v[0:1], off
	global_load_dword v21, v[6:7], off
	v_add_co_u32 v0, s0, v6, s2
	v_add_co_ci_u32_e64 v1, s0, s3, v7, s0
	s_clause 0x2
	global_load_dword v22, v[40:41], off offset:208
	global_load_dword v23, v[40:41], off offset:508
	;; [unrolled: 1-line block ×3, first 2 shown]
	v_add_co_u32 v6, s0, v0, s2
	v_add_co_ci_u32_e64 v7, s0, s3, v1, s0
	global_load_dword v25, v[0:1], off
	v_add_co_u32 v0, s0, v6, s2
	v_add_co_ci_u32_e64 v1, s0, s3, v7, s0
	global_load_dword v26, v[6:7], off
	;; [unrolled: 3-line block ×4, first 2 shown]
	v_add_co_u32 v6, s0, v0, s2
	v_add_co_ci_u32_e64 v7, s0, s3, v1, s0
	global_load_dword v29, v[40:41], off offset:1108
	global_load_dword v0, v[0:1], off
	global_load_dword v1, v[6:7], off
	s_clause 0x1
	global_load_dword v6, v[40:41], off offset:1408
	global_load_dword v7, v[40:41], off offset:1708
	s_waitcnt vmcnt(25)
	v_lshrrev_b32_e32 v30, 16, v8
	s_waitcnt vmcnt(24)
	v_mul_f16_sdwa v31, v9, v8 dst_sel:DWORD dst_unused:UNUSED_PAD src0_sel:WORD_1 src1_sel:DWORD
	s_waitcnt vmcnt(22)
	v_lshrrev_b32_e32 v33, 16, v11
	v_mul_f16_sdwa v32, v9, v30 dst_sel:DWORD dst_unused:UNUSED_PAD src0_sel:WORD_1 src1_sel:DWORD
	v_mul_f16_sdwa v35, v10, v11 dst_sel:DWORD dst_unused:UNUSED_PAD src0_sel:WORD_1 src1_sel:DWORD
	v_fma_f16 v30, v9, v30, -v31
	v_fmac_f16_e32 v32, v9, v8
	v_mul_f16_sdwa v8, v10, v33 dst_sel:DWORD dst_unused:UNUSED_PAD src0_sel:WORD_1 src1_sel:DWORD
	s_waitcnt vmcnt(21)
	v_lshrrev_b32_e32 v9, 16, v12
	v_fma_f16 v31, v10, v33, -v35
	s_waitcnt vmcnt(20)
	v_mul_f16_sdwa v33, v13, v12 dst_sel:DWORD dst_unused:UNUSED_PAD src0_sel:WORD_1 src1_sel:DWORD
	v_pack_b32_f16 v30, v32, v30
	v_fmac_f16_e32 v8, v10, v11
	v_mul_f16_sdwa v10, v13, v9 dst_sel:DWORD dst_unused:UNUSED_PAD src0_sel:WORD_1 src1_sel:DWORD
	s_waitcnt vmcnt(17)
	v_lshrrev_b32_e32 v11, 16, v16
	v_mul_f16_sdwa v32, v14, v16 dst_sel:DWORD dst_unused:UNUSED_PAD src0_sel:WORD_1 src1_sel:DWORD
	v_fma_f16 v9, v13, v9, -v33
	v_pack_b32_f16 v8, v8, v31
	v_fmac_f16_e32 v10, v13, v12
	v_mul_f16_sdwa v12, v14, v11 dst_sel:DWORD dst_unused:UNUSED_PAD src0_sel:WORD_1 src1_sel:DWORD
	s_waitcnt vmcnt(16)
	v_lshrrev_b32_e32 v13, 16, v17
	v_fma_f16 v11, v14, v11, -v32
	v_mul_f16_sdwa v31, v15, v17 dst_sel:DWORD dst_unused:UNUSED_PAD src0_sel:WORD_1 src1_sel:DWORD
	ds_write2_b32 v90, v30, v8 offset0:39 offset1:114
	v_pack_b32_f16 v8, v10, v9
	v_fmac_f16_e32 v12, v14, v16
	v_mul_f16_sdwa v9, v15, v13 dst_sel:DWORD dst_unused:UNUSED_PAD src0_sel:WORD_1 src1_sel:DWORD
	s_waitcnt vmcnt(13)
	v_lshrrev_b32_e32 v10, 16, v20
	v_mul_f16_sdwa v14, v18, v20 dst_sel:DWORD dst_unused:UNUSED_PAD src0_sel:WORD_1 src1_sel:DWORD
	v_fma_f16 v13, v15, v13, -v31
	v_pack_b32_f16 v11, v12, v11
	v_fmac_f16_e32 v9, v15, v17
	v_mul_f16_sdwa v12, v18, v10 dst_sel:DWORD dst_unused:UNUSED_PAD src0_sel:WORD_1 src1_sel:DWORD
	v_fma_f16 v10, v18, v10, -v14
	s_waitcnt vmcnt(12)
	v_lshrrev_b32_e32 v14, 16, v21
	v_mul_f16_sdwa v15, v19, v21 dst_sel:DWORD dst_unused:UNUSED_PAD src0_sel:WORD_1 src1_sel:DWORD
	ds_write2_b32 v34, v8, v11 offset0:61 offset1:136
	v_pack_b32_f16 v8, v9, v13
	v_fmac_f16_e32 v12, v18, v20
	v_mul_f16_sdwa v9, v19, v14 dst_sel:DWORD dst_unused:UNUSED_PAD src0_sel:WORD_1 src1_sel:DWORD
	s_waitcnt vmcnt(8)
	v_lshrrev_b32_e32 v11, 16, v25
	v_fma_f16 v13, v19, v14, -v15
	v_mul_f16_sdwa v14, v22, v25 dst_sel:DWORD dst_unused:UNUSED_PAD src0_sel:WORD_1 src1_sel:DWORD
	s_waitcnt vmcnt(7)
	v_lshrrev_b32_e32 v15, 16, v26
	v_fmac_f16_e32 v9, v19, v21
	v_pack_b32_f16 v10, v12, v10
	v_mul_f16_sdwa v12, v22, v11 dst_sel:DWORD dst_unused:UNUSED_PAD src0_sel:WORD_1 src1_sel:DWORD
	v_fma_f16 v11, v22, v11, -v14
	v_mul_f16_sdwa v14, v23, v26 dst_sel:DWORD dst_unused:UNUSED_PAD src0_sel:WORD_1 src1_sel:DWORD
	v_pack_b32_f16 v9, v9, v13
	v_mul_f16_sdwa v13, v23, v15 dst_sel:DWORD dst_unused:UNUSED_PAD src0_sel:WORD_1 src1_sel:DWORD
	v_fmac_f16_e32 v12, v22, v25
	s_waitcnt vmcnt(6)
	v_lshrrev_b32_e32 v16, 16, v27
	v_mul_f16_sdwa v17, v24, v27 dst_sel:DWORD dst_unused:UNUSED_PAD src0_sel:WORD_1 src1_sel:DWORD
	v_fma_f16 v14, v23, v15, -v14
	v_fmac_f16_e32 v13, v23, v26
	v_pack_b32_f16 v11, v12, v11
	v_mul_f16_sdwa v12, v24, v16 dst_sel:DWORD dst_unused:UNUSED_PAD src0_sel:WORD_1 src1_sel:DWORD
	v_fma_f16 v15, v24, v16, -v17
	s_waitcnt vmcnt(5)
	v_lshrrev_b32_e32 v16, 16, v28
	s_waitcnt vmcnt(4)
	v_mul_f16_sdwa v17, v29, v28 dst_sel:DWORD dst_unused:UNUSED_PAD src0_sel:WORD_1 src1_sel:DWORD
	v_pack_b32_f16 v13, v13, v14
	s_waitcnt vmcnt(3)
	v_lshrrev_b32_e32 v14, 16, v0
	s_waitcnt vmcnt(2)
	v_lshrrev_b32_e32 v18, 16, v1
	v_mul_f16_sdwa v19, v29, v16 dst_sel:DWORD dst_unused:UNUSED_PAD src0_sel:WORD_1 src1_sel:DWORD
	v_fma_f16 v16, v29, v16, -v17
	s_waitcnt vmcnt(1)
	v_mul_f16_sdwa v17, v6, v0 dst_sel:DWORD dst_unused:UNUSED_PAD src0_sel:WORD_1 src1_sel:DWORD
	v_mul_f16_sdwa v20, v6, v14 dst_sel:DWORD dst_unused:UNUSED_PAD src0_sel:WORD_1 src1_sel:DWORD
	s_waitcnt vmcnt(0)
	v_mul_f16_sdwa v21, v7, v18 dst_sel:DWORD dst_unused:UNUSED_PAD src0_sel:WORD_1 src1_sel:DWORD
	v_mul_f16_sdwa v22, v7, v1 dst_sel:DWORD dst_unused:UNUSED_PAD src0_sel:WORD_1 src1_sel:DWORD
	v_fmac_f16_e32 v12, v24, v27
	v_fmac_f16_e32 v19, v29, v28
	v_fma_f16 v14, v6, v14, -v17
	v_fmac_f16_e32 v20, v6, v0
	v_fmac_f16_e32 v21, v7, v1
	v_fma_f16 v0, v7, v18, -v22
	v_pack_b32_f16 v1, v12, v15
	v_pack_b32_f16 v6, v19, v16
	;; [unrolled: 1-line block ×3, first 2 shown]
	v_add_nc_u32_e32 v12, 0xc00, v90
	v_pack_b32_f16 v0, v21, v0
	ds_write2_b32 v2, v8, v10 offset0:83 offset1:158
	ds_write2_b32 v3, v9, v11 offset0:105 offset1:180
	ds_write2_b32 v4, v13, v1 offset0:127 offset1:202
	ds_write2_b32 v12, v6, v7 offset0:21 offset1:96
	ds_write_b32 v90, v0 offset:3756
.LBB0_3:
	s_or_b32 exec_lo, exec_lo, s13
	s_waitcnt lgkmcnt(0)
	s_barrier
	buffer_gl0_inv
	ds_read2_b32 v[12:13], v90 offset1:75
	ds_read2_b32 v[22:23], v90 offset0:150 offset1:225
	ds_read2_b32 v[18:19], v2 offset0:44 offset1:119
	;; [unrolled: 1-line block ×5, first 2 shown]
	ds_read_b32 v30, v90 offset:3600
	s_load_dwordx2 s[2:3], s[4:5], 0x8
	v_mov_b32_e32 v45, s12
	v_mov_b32_e32 v2, 0
                                        ; implicit-def: $vgpr24
                                        ; implicit-def: $vgpr1
                                        ; implicit-def: $vgpr5
                                        ; implicit-def: $vgpr7
                                        ; implicit-def: $vgpr9
                                        ; implicit-def: $vgpr11
	s_and_saveexec_b32 s0, vcc_lo
	s_cbranch_execz .LBB0_5
; %bb.4:
	v_add_nc_u32_e32 v0, 0x200, v90
	v_add_nc_u32_e32 v1, 0x400, v90
	;; [unrolled: 1-line block ×5, first 2 shown]
	ds_read2_b32 v[2:3], v90 offset0:39 offset1:114
	ds_read2_b32 v[10:11], v0 offset0:61 offset1:136
	;; [unrolled: 1-line block ×6, first 2 shown]
	ds_read_b32 v24, v90 offset:3756
.LBB0_5:
	s_or_b32 exec_lo, exec_lo, s0
	s_waitcnt lgkmcnt(0)
	v_pk_add_f16 v28, v12, v13
	v_pk_add_f16 v38, v30, v13
	v_mov_b32_e32 v31, 0xb770
	v_pk_add_f16 v13, v13, v30 neg_lo:[0,1] neg_hi:[0,1]
	v_pk_add_f16 v33, v15, v22
	v_pk_add_f16 v32, v28, v22
	v_pk_mul_f16 v37, 0x3b15388b, v38
	v_mov_b32_e32 v25, 0xba95
	v_pk_add_f16 v35, v14, v23
	v_lshrrev_b32_e32 v39, 16, v38
	v_pk_add_f16 v34, v32, v23
	v_pk_add_f16 v32, v22, v15 neg_lo:[0,1] neg_hi:[0,1]
	v_mul_f16_e32 v48, 0xba95, v13
	v_pk_fma_f16 v75, 0xba95b770, v13, v37 op_sel:[0,0,1] op_sel_hi:[1,1,0] neg_lo:[0,1,0] neg_hi:[0,1,0]
	v_pk_fma_f16 v51, 0xba95b770, v13, v37 op_sel:[0,0,1] op_sel_hi:[1,1,0]
	v_pk_add_f16 v22, v34, v18
	v_pk_add_f16 v34, v23, v14 neg_lo:[0,1] neg_hi:[0,1]
	v_mul_f16_sdwa v23, v13, v31 dst_sel:DWORD dst_unused:UNUSED_PAD src0_sel:WORD_1 src1_sel:DWORD
	v_mul_f16_sdwa v74, v32, v25 dst_sel:DWORD dst_unused:UNUSED_PAD src0_sel:WORD_1 src1_sel:DWORD
	v_pk_mul_f16 v49, 0x388bb5ac, v33
	v_pk_add_f16 v22, v22, v19
	v_fmamk_f16 v50, v39, 0x388b, v48
	v_fma_f16 v37, v38, 0x3b15, -v23
	v_bfi_b32 v52, 0xffff, v51, v75
	v_lshrrev_b32_e32 v69, 16, v33
	v_pk_add_f16 v22, v22, v16
	v_mul_f16_e32 v81, 0xbb7b, v32
	v_pk_fma_f16 v47, 0xbb7bba95, v32, v49 op_sel:[0,0,1] op_sel_hi:[1,1,0] neg_lo:[0,1,0] neg_hi:[0,1,0]
	v_pk_fma_f16 v77, 0xbb7bba95, v32, v49 op_sel:[0,0,1] op_sel_hi:[1,1,0]
	v_add_f16_e32 v37, v12, v37
	v_pk_add_f16 v22, v22, v17
	v_add_f16_sdwa v49, v12, v50 dst_sel:DWORD dst_unused:UNUSED_PAD src0_sel:WORD_1 src1_sel:DWORD
	v_pk_add_f16 v50, v12, v52 op_sel:[1,0] op_sel_hi:[0,1]
	v_fma_f16 v52, v33, 0x388b, -v74
	v_bfi_b32 v53, 0xffff, v77, v47
	v_pk_add_f16 v22, v22, v20
	v_fmamk_f16 v54, v69, 0xb5ac, v81
	v_pk_mul_f16 v55, 0x2fb7bbc4, v35
	v_add_f16_e32 v37, v52, v37
	v_pk_add_f16 v52, v21, v18
	v_mov_b32_e32 v27, 0xbbf1
	v_pk_add_f16 v22, v22, v21
	v_pk_add_f16 v53, v53, v50
	v_add_f16_e32 v49, v54, v49
	v_pk_fma_f16 v54, 0xb3a8bbf1, v34, v55 op_sel:[0,0,1] op_sel_hi:[1,1,0] neg_lo:[0,1,0] neg_hi:[0,1,0]
	v_pk_fma_f16 v72, 0xb3a8bbf1, v34, v55 op_sel:[0,0,1] op_sel_hi:[1,1,0]
	v_lshrrev_b32_e32 v83, 16, v35
	v_mul_f16_e32 v109, 0xb3a8, v34
	v_pk_add_f16 v50, v18, v21 neg_lo:[0,1] neg_hi:[0,1]
	v_pk_mul_f16 v21, 0xb5acb9fd, v52
	v_mov_b32_e32 v26, 0xbb7b
	v_mul_f16_sdwa v71, v34, v27 dst_sel:DWORD dst_unused:UNUSED_PAD src0_sel:WORD_1 src1_sel:DWORD
	v_bfi_b32 v18, 0xffff, v72, v54
	v_fmamk_f16 v55, v83, 0xbbc4, v109
	v_pk_fma_f16 v59, 0x394ebb7b, v50, v21 op_sel:[0,0,1] op_sel_hi:[1,1,0] neg_lo:[0,1,0] neg_hi:[0,1,0]
	v_pk_fma_f16 v88, 0x394ebb7b, v50, v21 op_sel:[0,0,1] op_sel_hi:[1,1,0]
	v_pk_add_f16 v57, v20, v19
	v_mov_b32_e32 v29, 0xb94e
	v_fma_f16 v56, v35, 0x2fb7, -v71
	v_mul_f16_sdwa v87, v50, v26 dst_sel:DWORD dst_unused:UNUSED_PAD src0_sel:WORD_1 src1_sel:DWORD
	v_pk_add_f16 v18, v18, v53
	v_add_f16_e32 v21, v55, v49
	v_pk_add_f16 v55, v19, v20 neg_lo:[0,1] neg_hi:[0,1]
	v_bfi_b32 v19, 0xffff, v88, v59
	v_lshrrev_b32_e32 v108, 16, v52
	v_mul_f16_e32 v110, 0x394e, v50
	v_pk_mul_f16 v20, 0xb9fd2fb7, v57
	v_pk_add_f16 v64, v17, v16
	v_add_f16_e32 v37, v56, v37
	v_fma_f16 v49, v52, 0xb5ac, -v87
	v_mul_f16_sdwa v105, v55, v29 dst_sel:DWORD dst_unused:UNUSED_PAD src0_sel:WORD_1 src1_sel:DWORD
	v_pk_add_f16 v18, v19, v18
	v_fmamk_f16 v19, v108, 0xb9fd, v110
	v_pk_fma_f16 v82, 0x3bf1b94e, v55, v20 op_sel:[0,0,1] op_sel_hi:[1,1,0] neg_lo:[0,1,0] neg_hi:[0,1,0]
	v_pk_fma_f16 v60, 0x3bf1b94e, v55, v20 op_sel:[0,0,1] op_sel_hi:[1,1,0]
	v_pk_add_f16 v62, v16, v17 neg_lo:[0,1] neg_hi:[0,1]
	v_pk_mul_f16 v67, 0xbbc43b15, v64
	v_add_f16_e32 v37, v49, v37
	v_fma_f16 v49, v57, 0xb9fd, -v105
	v_lshrrev_b32_e32 v111, 16, v57
	v_mul_f16_e32 v112, 0x3bf1, v55
	v_add_f16_e32 v16, v19, v21
	v_bfi_b32 v19, 0xffff, v60, v82
	v_pk_fma_f16 v113, 0x3770b3a8, v62, v67 op_sel:[0,0,1] op_sel_hi:[1,1,0] neg_lo:[0,1,0] neg_hi:[0,1,0]
	v_pk_fma_f16 v21, 0x3770b3a8, v62, v67 op_sel:[0,0,1] op_sel_hi:[1,1,0]
	v_mov_b32_e32 v28, 0xb3a8
	v_mul_lo_u16 v36, v44, 13
	v_add_f16_e32 v17, v49, v37
	v_fmamk_f16 v20, v111, 0x2fb7, v112
	v_lshrrev_b32_e32 v85, 16, v64
	v_mul_f16_e32 v114, 0x3770, v62
	v_pk_add_f16 v18, v19, v18
	v_bfi_b32 v19, 0xffff, v21, v113
	v_mul_f16_sdwa v49, v13, v27 dst_sel:DWORD dst_unused:UNUSED_PAD src0_sel:WORD_1 src1_sel:DWORD
	v_add_f16_e32 v16, v20, v16
	v_fmamk_f16 v20, v85, 0x3b15, v114
	v_and_b32_e32 v21, 0xffff, v36
	v_pk_add_f16 v18, v19, v18
	v_mul_f16_e32 v19, 0xbbf1, v13
	v_fma_f16 v36, v38, 0x2fb7, -v49
	v_mul_f16_sdwa v116, v32, v28 dst_sel:DWORD dst_unused:UNUSED_PAD src0_sel:WORD_1 src1_sel:DWORD
	v_add_f16_e32 v16, v20, v16
	v_mul_f16_e32 v117, 0xb3a8, v32
	v_fmamk_f16 v20, v39, 0x2fb7, v19
	v_add_f16_e32 v36, v12, v36
	v_fma_f16 v37, v33, 0xbbc4, -v116
	v_mul_f16_sdwa v61, v13, v26 dst_sel:DWORD dst_unused:UNUSED_PAD src0_sel:WORD_1 src1_sel:DWORD
	v_fmamk_f16 v53, v69, 0xbbc4, v117
	v_add_f16_sdwa v20, v12, v20 dst_sel:DWORD dst_unused:UNUSED_PAD src0_sel:WORD_1 src1_sel:DWORD
	v_mul_f16_e32 v63, 0xbb7b, v13
	v_add_f16_e32 v56, v37, v36
	v_mov_b32_e32 v36, 0x394e
	v_fma_f16 v37, v38, 0xb5ac, -v61
	v_add_f16_e32 v20, v53, v20
	v_mov_b32_e32 v53, 0x3b7b
	v_fmamk_f16 v58, v39, 0xb5ac, v63
	v_mul_f16_sdwa v118, v32, v36 dst_sel:DWORD dst_unused:UNUSED_PAD src0_sel:WORD_1 src1_sel:DWORD
	v_mul_f16_e32 v119, 0x394e, v32
	v_add_f16_e32 v65, v12, v37
	v_mov_b32_e32 v37, 0x3770
	v_mul_f16_sdwa v120, v34, v53 dst_sel:DWORD dst_unused:UNUSED_PAD src0_sel:WORD_1 src1_sel:DWORD
	v_fma_f16 v53, v33, 0xb9fd, -v118
	v_add_f16_sdwa v58, v12, v58 dst_sel:DWORD dst_unused:UNUSED_PAD src0_sel:WORD_1 src1_sel:DWORD
	v_fmamk_f16 v66, v69, 0xb9fd, v119
	v_mul_f16_e32 v121, 0x3b7b, v34
	v_mul_f16_sdwa v122, v34, v37 dst_sel:DWORD dst_unused:UNUSED_PAD src0_sel:WORD_1 src1_sel:DWORD
	v_fma_f16 v68, v35, 0xb5ac, -v120
	v_add_f16_e32 v53, v53, v65
	v_add_f16_e32 v58, v66, v58
	v_mul_f16_e32 v123, 0x3770, v34
	v_fmamk_f16 v65, v83, 0xb5ac, v121
	v_mul_f16_sdwa v124, v50, v37 dst_sel:DWORD dst_unused:UNUSED_PAD src0_sel:WORD_1 src1_sel:DWORD
	v_fma_f16 v66, v35, 0x3b15, -v122
	v_mul_f16_e32 v125, 0x3770, v50
	v_add_f16_e32 v56, v68, v56
	v_fmamk_f16 v68, v83, 0x3b15, v123
	v_add_f16_e32 v20, v65, v20
	v_fma_f16 v65, v52, 0x3b15, -v124
	v_add_f16_e32 v53, v66, v53
	v_fmamk_f16 v66, v108, 0x3b15, v125
	v_mul_f16_sdwa v126, v50, v27 dst_sel:DWORD dst_unused:UNUSED_PAD src0_sel:WORD_1 src1_sel:DWORD
	v_mul_f16_e32 v127, 0xbbf1, v50
	v_add_f16_e32 v58, v68, v58
	v_add_f16_e32 v65, v65, v56
	;; [unrolled: 1-line block ×3, first 2 shown]
	v_mov_b32_e32 v56, 0x33a8
	v_fma_f16 v66, v52, 0x2fb7, -v126
	v_mul_f16_sdwa v128, v55, v25 dst_sel:DWORD dst_unused:UNUSED_PAD src0_sel:WORD_1 src1_sel:DWORD
	v_fmamk_f16 v68, v108, 0x2fb7, v127
	v_mul_f16_e32 v129, 0xba95, v55
	v_mul_f16_sdwa v130, v55, v56 dst_sel:DWORD dst_unused:UNUSED_PAD src0_sel:WORD_1 src1_sel:DWORD
	v_add_f16_e32 v53, v66, v53
	v_fma_f16 v66, v57, 0x388b, -v128
	v_add_f16_e32 v68, v68, v58
	v_mul_f16_e32 v131, 0x33a8, v55
	v_mov_b32_e32 v58, 0x3a95
	v_mul_f16_sdwa v115, v62, v28 dst_sel:DWORD dst_unused:UNUSED_PAD src0_sel:WORD_1 src1_sel:DWORD
	v_fmamk_f16 v70, v111, 0x388b, v129
	v_fma_f16 v73, v57, 0xbbc4, -v130
	v_add_f16_e32 v65, v66, v65
	v_fmamk_f16 v66, v111, 0xbbc4, v131
	v_mul_f16_sdwa v132, v62, v29 dst_sel:DWORD dst_unused:UNUSED_PAD src0_sel:WORD_1 src1_sel:DWORD
	v_mul_f16_sdwa v133, v62, v58 dst_sel:DWORD dst_unused:UNUSED_PAD src0_sel:WORD_1 src1_sel:DWORD
	v_mul_f16_e32 v134, 0x3a95, v62
	v_mul_f16_e32 v135, 0xb9fd, v85
	v_pk_add_f16 v14, v22, v14
	v_fma_f16 v22, v64, 0xbbc4, -v115
	v_add_f16_e32 v20, v70, v20
	v_add_f16_e32 v53, v73, v53
	;; [unrolled: 1-line block ×3, first 2 shown]
	v_fma_f16 v68, v64, 0xb9fd, -v132
	v_fma_f16 v70, v64, 0x388b, -v133
	v_fmamk_f16 v73, v85, 0x388b, v134
	v_fmamk_f16 v76, v62, 0xb94e, v135
	v_add_f16_e32 v17, v22, v17
	v_add_f16_e32 v22, v68, v65
	;; [unrolled: 1-line block ×5, first 2 shown]
	v_lshl_add_u32 v106, v21, 2, v104
	v_alignbit_b32 v16, v16, v18, 16
	v_pack_b32_f16 v17, v17, v18
	v_pack_b32_f16 v18, v53, v65
	;; [unrolled: 1-line block ×3, first 2 shown]
	v_pk_add_f16 v136, v14, v15
	v_mul_f16_e32 v14, 0xb94e, v13
	s_barrier
	buffer_gl0_inv
	ds_write2_b32 v106, v20, v18 offset0:3 offset1:4
	v_fmamk_f16 v18, v39, 0xb9fd, v14
	v_fma_f16 v53, v39, 0xb9fd, -v14
	v_pk_mul_f16 v14, 0xbbc4, v38 op_sel_hi:[0,1]
	v_mul_f16_sdwa v21, v13, v29 dst_sel:DWORD dst_unused:UNUSED_PAD src0_sel:WORD_1 src1_sel:DWORD
	v_fmac_f16_e32 v61, 0xb5ac, v38
	ds_write2_b32 v106, v17, v16 offset0:1 offset1:2
	v_fma_f16 v15, v39, 0x388b, -v48
	v_pk_fma_f16 v76, 0xb3a8, v13, v14 op_sel:[0,0,1] op_sel_hi:[0,1,0] neg_lo:[0,1,0] neg_hi:[0,1,0]
	v_pk_fma_f16 v137, 0xb3a8, v13, v14 op_sel:[0,0,1] op_sel_hi:[0,1,0]
	v_pk_add_f16 v13, v3, v24 neg_lo:[0,1] neg_hi:[0,1]
	v_fma_f16 v16, v39, 0x2fb7, -v19
	v_fma_f16 v20, v38, 0xb9fd, -v21
	v_add_f16_e32 v143, v12, v61
	v_pk_add_f16 v19, v24, v3
	v_mul_f16_sdwa v61, v13, v31 dst_sel:DWORD dst_unused:UNUSED_PAD src0_sel:WORD_1 src1_sel:DWORD
	v_pk_add_f16 v14, v10, v1 neg_lo:[0,1] neg_hi:[0,1]
	v_fma_f16 v17, v39, 0xb5ac, -v63
	v_add_f16_sdwa v140, v12, v15 dst_sel:DWORD dst_unused:UNUSED_PAD src0_sel:WORD_1 src1_sel:DWORD
	v_add_f16_e32 v145, v12, v20
	v_fmamk_f16 v15, v19, 0x3b15, v61
	v_pk_add_f16 v20, v1, v10
	v_mul_f16_sdwa v63, v14, v25 dst_sel:DWORD dst_unused:UNUSED_PAD src0_sel:WORD_1 src1_sel:DWORD
	v_add_f16_sdwa v142, v12, v16 dst_sel:DWORD dst_unused:UNUSED_PAD src0_sel:WORD_1 src1_sel:DWORD
	v_add_f16_sdwa v144, v12, v17 dst_sel:DWORD dst_unused:UNUSED_PAD src0_sel:WORD_1 src1_sel:DWORD
	v_lshrrev_b32_e32 v39, 16, v19
	v_mul_f16_e32 v73, 0xb770, v13
	v_add_f16_e32 v16, v15, v2
	v_fmamk_f16 v17, v20, 0x388b, v63
	v_pk_add_f16 v15, v11, v0 neg_lo:[0,1] neg_hi:[0,1]
	v_fmac_f16_e32 v23, 0x3b15, v38
	v_fmac_f16_e32 v21, 0xb9fd, v38
	v_add_f16_sdwa v146, v12, v18 dst_sel:DWORD dst_unused:UNUSED_PAD src0_sel:WORD_1 src1_sel:DWORD
	v_fma_f16 v18, v39, 0x3b15, -v73
	v_lshrrev_b32_e32 v48, 16, v20
	v_mul_f16_e32 v80, 0xba95, v14
	v_pk_add_f16 v22, v0, v11
	v_mul_f16_sdwa v66, v15, v27 dst_sel:DWORD dst_unused:UNUSED_PAD src0_sel:WORD_1 src1_sel:DWORD
	v_add_f16_e32 v17, v17, v16
	v_pk_add_f16 v16, v8, v5 neg_lo:[0,1] neg_hi:[0,1]
	v_fmac_f16_e32 v49, 0x2fb7, v38
	v_add_f16_e32 v138, v12, v23
	v_pk_add_f16 v139, v12, v51 op_sel:[1,0] op_sel_hi:[0,1]
	v_add_f16_e32 v147, v12, v21
	v_add_f16_sdwa v18, v18, v2 dst_sel:DWORD dst_unused:UNUSED_PAD src0_sel:DWORD src1_sel:WORD_1
	v_fma_f16 v23, v48, 0x388b, -v80
	v_fmamk_f16 v31, v22, 0x2fb7, v66
	v_lshrrev_b32_e32 v51, 16, v22
	v_mul_f16_e32 v84, 0xbbf1, v15
	v_pk_add_f16 v21, v5, v8
	v_mul_f16_sdwa v65, v16, v26 dst_sel:DWORD dst_unused:UNUSED_PAD src0_sel:WORD_1 src1_sel:DWORD
	v_add_f16_e32 v141, v12, v49
	v_add_f16_sdwa v148, v12, v53 dst_sel:DWORD dst_unused:UNUSED_PAD src0_sel:WORD_1 src1_sel:DWORD
	v_add_f16_e32 v18, v23, v18
	v_add_f16_e32 v31, v31, v17
	v_fma_f16 v38, v51, 0x2fb7, -v84
	v_fmamk_f16 v53, v21, 0xb5ac, v65
	v_lshrrev_b32_e32 v49, 16, v21
	v_mul_f16_e32 v89, 0xbb7b, v16
	v_pk_add_f16 v17, v9, v4 neg_lo:[0,1] neg_hi:[0,1]
	v_pk_add_f16 v23, v4, v9
	v_add_f16_e32 v38, v38, v18
	v_add_f16_e32 v149, v53, v31
	v_fma_f16 v70, v49, 0xb5ac, -v89
	v_mul_f16_e32 v107, 0xb94e, v17
	v_lshrrev_b32_e32 v53, 16, v23
	v_fmac_f16_e32 v74, 0x388b, v33
	v_fmac_f16_e32 v116, 0xbbc4, v33
	v_add_f16_e32 v150, v70, v38
	v_add_f16_sdwa v153, v12, v75 dst_sel:DWORD dst_unused:UNUSED_PAD src0_sel:WORD_1 src1_sel:DWORD
	v_fma_f16 v152, v53, 0xb9fd, -v107
	v_pk_add_f16 v137, v12, v137 op_sel:[1,0] op_sel_hi:[0,1]
	v_fma_f16 v81, v69, 0xb5ac, -v81
	v_add_f16_e32 v74, v74, v138
	v_pk_add_f16 v77, v77, v139
	v_add_f16_e32 v150, v152, v150
	v_pk_add_f16 v152, v12, v76 op_sel:[1,0] op_sel_hi:[0,1]
	v_mov_b32_e32 v12, 0x3bf1
	v_add_f16_e32 v116, v116, v141
	v_mul_f16_e32 v138, 0x3bf1, v32
	v_fmac_f16_e32 v71, 0x2fb7, v35
	v_fmac_f16_e32 v120, 0xb5ac, v35
	v_pk_add_f16 v30, v136, v30
	v_add_f16_e32 v81, v81, v140
	v_fma_f16 v117, v69, 0xbbc4, -v117
	v_mul_f16_sdwa v136, v32, v12 dst_sel:DWORD dst_unused:UNUSED_PAD src0_sel:WORD_1 src1_sel:DWORD
	v_fma_f16 v119, v69, 0xb9fd, -v119
	v_fmamk_f16 v140, v69, 0x2fb7, v138
	v_fma_f16 v69, v69, 0x2fb7, -v138
	v_fma_f16 v109, v83, 0xbbc4, -v109
	v_add_f16_e32 v71, v71, v74
	v_pk_add_f16 v72, v72, v77
	v_add_f16_e32 v77, v120, v116
	v_mul_f16_e32 v116, 0xba95, v34
	v_fmac_f16_e32 v87, 0xb5ac, v52
	v_add_f16_e32 v117, v117, v142
	v_fma_f16 v139, v33, 0x2fb7, -v136
	v_add_f16_e32 v119, v119, v144
	v_fmac_f16_e32 v136, 0x2fb7, v33
	v_add_f16_e32 v140, v140, v146
	v_add_f16_e32 v69, v69, v148
	v_add_f16_e32 v74, v109, v81
	v_fma_f16 v81, v83, 0xb5ac, -v121
	v_mul_f16_sdwa v109, v34, v25 dst_sel:DWORD dst_unused:UNUSED_PAD src0_sel:WORD_1 src1_sel:DWORD
	v_fma_f16 v120, v83, 0x3b15, -v123
	v_fmamk_f16 v121, v83, 0x388b, v116
	v_fma_f16 v83, v83, 0x388b, -v116
	v_add_f16_e32 v71, v87, v71
	v_mul_f16_e32 v87, 0x33a8, v50
	v_add_f16_e32 v47, v47, v153
	v_add_f16_e32 v136, v136, v147
	;; [unrolled: 1-line block ×3, first 2 shown]
	v_fma_f16 v117, v35, 0x388b, -v109
	v_add_f16_e32 v119, v120, v119
	v_fmac_f16_e32 v109, 0x388b, v35
	v_add_f16_e32 v120, v121, v140
	v_fma_f16 v110, v108, 0xb9fd, -v110
	v_fmac_f16_e32 v124, 0x3b15, v52
	v_add_f16_e32 v69, v83, v69
	v_mul_f16_sdwa v83, v50, v56 dst_sel:DWORD dst_unused:UNUSED_PAD src0_sel:WORD_1 src1_sel:DWORD
	v_fmamk_f16 v121, v108, 0xbbc4, v87
	v_fma_f16 v87, v108, 0xbbc4, -v87
	v_add_f16_e32 v47, v54, v47
	v_add_f16_e32 v109, v109, v136
	v_pk_add_f16 v72, v88, v72
	v_add_f16_e32 v74, v110, v74
	v_add_f16_e32 v77, v124, v77
	v_fma_f16 v88, v108, 0x3b15, -v125
	v_fma_f16 v110, v108, 0x2fb7, -v127
	;; [unrolled: 1-line block ×3, first 2 shown]
	v_fmac_f16_e32 v83, 0xbbc4, v52
	v_fmac_f16_e32 v105, 0xb9fd, v57
	v_fma_f16 v108, v111, 0x2fb7, -v112
	v_fmac_f16_e32 v128, 0x388b, v57
	v_add_f16_e32 v69, v87, v69
	v_mul_f16_sdwa v87, v55, v37 dst_sel:DWORD dst_unused:UNUSED_PAD src0_sel:WORD_1 src1_sel:DWORD
	v_add_f16_e32 v47, v59, v47
	v_fmac_f16_e32 v118, 0xb9fd, v33
	v_add_f16_e32 v110, v110, v119
	v_add_f16_e32 v83, v83, v109
	;; [unrolled: 1-line block ×5, first 2 shown]
	v_mul_f16_e32 v105, 0x3770, v55
	v_fma_f16 v108, v111, 0xbbc4, -v131
	v_fma_f16 v109, v57, 0x3b15, -v87
	v_fmac_f16_e32 v87, 0x3b15, v57
	v_add_f16_e32 v47, v82, v47
	v_fma_f16 v82, v85, 0x3b15, -v114
	v_fmac_f16_e32 v132, 0xb9fd, v64
	v_pk_mul_f16 v33, 0x3b15, v33 op_sel_hi:[0,1]
	v_add_f16_e32 v139, v139, v145
	v_fmac_f16_e32 v122, 0x3b15, v35
	v_fmamk_f16 v112, v111, 0x3b15, v105
	v_add_f16_e32 v108, v108, v110
	v_fma_f16 v105, v111, 0x3b15, -v105
	v_add_f16_e32 v83, v87, v83
	v_add_f16_e32 v87, v113, v47
	;; [unrolled: 1-line block ×4, first 2 shown]
	v_fma_f16 v47, v85, 0x388b, -v134
	v_pk_fma_f16 v77, 0x3770, v32, v33 op_sel:[0,0,1] op_sel_hi:[0,1,0] neg_lo:[0,1,0] neg_hi:[0,1,0]
	v_pk_fma_f16 v32, 0x3770, v32, v33 op_sel:[0,0,1] op_sel_hi:[0,1,0]
	v_pk_mul_f16 v35, 0xb9fd, v35 op_sel_hi:[0,1]
	v_add_f16_e32 v117, v117, v139
	v_add_f16_e32 v69, v105, v69
	;; [unrolled: 1-line block ×3, first 2 shown]
	v_pk_add_f16 v47, v77, v152
	v_pk_add_f16 v32, v32, v137
	v_pk_fma_f16 v108, 0xb94e, v34, v35 op_sel:[0,0,1] op_sel_hi:[0,1,0] neg_lo:[0,1,0] neg_hi:[0,1,0]
	v_pk_fma_f16 v34, 0xb94e, v34, v35 op_sel:[0,0,1] op_sel_hi:[0,1,0]
	v_pk_mul_f16 v35, 0x388b, v52 op_sel_hi:[0,1]
	v_add_f16_e32 v116, v116, v117
	v_mul_f16_sdwa v33, v62, v26 dst_sel:DWORD dst_unused:UNUSED_PAD src0_sel:WORD_1 src1_sel:DWORD
	v_pk_add_f16 v47, v108, v47
	v_pk_add_f16 v32, v34, v32
	v_pk_fma_f16 v34, 0x3a95, v50, v35 op_sel:[0,0,1] op_sel_hi:[0,1,0] neg_lo:[0,1,0] neg_hi:[0,1,0]
	v_pk_fma_f16 v35, 0x3a95, v50, v35 op_sel:[0,0,1] op_sel_hi:[0,1,0]
	v_pk_mul_f16 v50, 0xb5ac, v57 op_sel_hi:[0,1]
	v_add_f16_e32 v118, v118, v143
	v_add_f16_e32 v117, v121, v120
	;; [unrolled: 1-line block ×3, first 2 shown]
	v_fma_f16 v77, v64, 0xb5ac, -v33
	v_mul_f16_e32 v110, 0xbb7b, v62
	v_pk_add_f16 v34, v34, v47
	v_pk_add_f16 v32, v35, v32
	v_pk_fma_f16 v35, 0xbb7b, v55, v50 op_sel:[0,0,1] op_sel_hi:[0,1,0] neg_lo:[0,1,0] neg_hi:[0,1,0]
	v_pk_fma_f16 v47, 0xbb7b, v55, v50 op_sel:[0,0,1] op_sel_hi:[0,1,0]
	v_mul_f16_e32 v55, 0xb94e, v62
	v_add_f16_e32 v118, v122, v118
	v_fmac_f16_e32 v126, 0x2fb7, v52
	v_add_f16_e32 v81, v88, v81
	v_add_f16_e32 v109, v112, v117
	v_fma_f16 v59, v111, 0x388b, -v129
	v_add_f16_e32 v52, v77, v54
	v_fmamk_f16 v54, v85, 0xb5ac, v110
	v_pk_add_f16 v34, v35, v34
	v_pk_mul_f16 v35, 0x3770b3a8, v62
	v_pk_add_f16 v32, v47, v32
	v_bfi_b32 v47, 0xffff, v55, v72
	v_mul_f16_sdwa v68, v17, v29 dst_sel:DWORD dst_unused:UNUSED_PAD src0_sel:WORD_1 src1_sel:DWORD
	v_pk_add_f16 v18, v6, v7 neg_lo:[0,1] neg_hi:[0,1]
	v_pk_add_f16 v31, v7, v6
	v_add_f16_e32 v88, v126, v118
	v_fmac_f16_e32 v130, 0xbbc4, v57
	v_pk_mul_f16 v57, 0x2fb7, v64 op_sel_hi:[0,1]
	v_add_f16_e32 v54, v54, v109
	v_pack_b32_f16 v55, v59, v67
	v_bfi_b32 v35, 0xffff, v81, v35
	v_pk_add_f16 v47, v135, v47 neg_lo:[0,1] neg_hi:[0,1]
	v_pk_add_f16 v60, v60, v72
	v_fmamk_f16 v151, v23, 0xb9fd, v68
	v_mul_f16_sdwa v70, v18, v28 dst_sel:DWORD dst_unused:UNUSED_PAD src0_sel:WORD_1 src1_sel:DWORD
	v_lshrrev_b32_e32 v38, 16, v31
	v_mul_f16_e32 v86, 0xb3a8, v18
	v_add_f16_e32 v88, v130, v88
	v_fmac_f16_e32 v133, 0x388b, v64
	v_pk_fma_f16 v59, 0x3bf1, v62, v57 op_sel:[0,0,1] op_sel_hi:[0,1,0] neg_lo:[0,1,0] neg_hi:[0,1,0]
	v_pk_fma_f16 v57, 0x3bf1, v62, v57 op_sel:[0,0,1] op_sel_hi:[0,1,0]
	v_fmac_f16_e32 v33, 0xb5ac, v64
	v_fma_f16 v50, v85, 0xb5ac, -v110
	v_pack_b32_f16 v52, v52, v54
	v_pk_add_f16 v35, v55, v35
	v_bfi_b32 v54, 0xffff, v47, v60
	v_fmac_f16_e32 v115, 0xbbc4, v64
	v_add_f16_e32 v75, v151, v149
	v_fmamk_f16 v149, v31, 0xbbc4, v70
	v_fma_f16 v151, v38, 0xbbc4, -v86
	v_add_f16_e32 v88, v133, v88
	v_pk_add_f16 v34, v59, v34
	v_pk_add_f16 v32, v57, v32
	v_add_co_u32 v77, s0, v44, 39
	v_add_f16_e32 v33, v33, v83
	v_add_f16_e32 v50, v50, v69
	ds_write2_b32 v106, v30, v52 offset1:5
	v_pk_add_f16 v30, v54, v35
	v_add_f16_e32 v71, v115, v71
	v_add_f16_e32 v75, v149, v75
	;; [unrolled: 1-line block ×3, first 2 shown]
	v_add_co_ci_u32_e64 v47, null, 0, 0, s0
	v_alignbit_b32 v35, v34, v32, 16
	v_alignbit_b32 v32, v32, v34, 16
	v_pack_b32_f16 v34, v88, v105
	v_mul_u32_u24_e32 v105, 13, v77
	v_pack_b32_f16 v33, v33, v50
	v_alignbit_b32 v50, v74, v30, 16
	v_pack_b32_f16 v30, v82, v30
	v_pack_b32_f16 v52, v71, v87
	ds_write2_b32 v106, v32, v35 offset0:6 offset1:7
	ds_write2_b32 v106, v33, v34 offset0:8 offset1:9
	;; [unrolled: 1-line block ×3, first 2 shown]
	ds_write_b32 v106, v52 offset:48
	s_and_saveexec_b32 s0, vcc_lo
	s_cbranch_execz .LBB0_7
; %bb.6:
	v_mul_f16_e32 v30, 0xb94e, v13
	v_mul_f16_e32 v35, 0x3bf1, v14
	;; [unrolled: 1-line block ×5, first 2 shown]
	v_fmamk_f16 v50, v39, 0xb9fd, v30
	v_fmamk_f16 v57, v48, 0x2fb7, v35
	;; [unrolled: 1-line block ×4, first 2 shown]
	v_mul_f16_sdwa v29, v13, v29 dst_sel:DWORD dst_unused:UNUSED_PAD src0_sel:WORD_1 src1_sel:DWORD
	v_add_f16_sdwa v50, v50, v2 dst_sel:DWORD dst_unused:UNUSED_PAD src0_sel:DWORD src1_sel:WORD_1
	v_fmamk_f16 v74, v53, 0x3b15, v69
	v_mul_f16_sdwa v81, v14, v12 dst_sel:DWORD dst_unused:UNUSED_PAD src0_sel:WORD_1 src1_sel:DWORD
	v_mul_f16_sdwa v85, v15, v25 dst_sel:DWORD dst_unused:UNUSED_PAD src0_sel:WORD_1 src1_sel:DWORD
	v_mul_f16_e32 v33, 0x3b15, v19
	v_add_f16_e32 v50, v57, v50
	v_mul_f16_sdwa v109, v16, v56 dst_sel:DWORD dst_unused:UNUSED_PAD src0_sel:WORD_1 src1_sel:DWORD
	v_mul_f16_e32 v34, 0x3b15, v39
	v_mul_f16_e32 v52, 0x388b, v20
	v_mul_f16_sdwa v112, v17, v37 dst_sel:DWORD dst_unused:UNUSED_PAD src0_sel:WORD_1 src1_sel:DWORD
	v_add_f16_e32 v50, v64, v50
	v_sub_f16_e32 v33, v33, v61
	v_mul_f16_e32 v54, 0x388b, v48
	v_mul_f16_e32 v59, 0x2fb7, v22
	v_mul_f16_sdwa v114, v18, v26 dst_sel:DWORD dst_unused:UNUSED_PAD src0_sel:WORD_1 src1_sel:DWORD
	v_add_f16_e32 v50, v71, v50
	v_fma_f16 v71, v19, 0xb9fd, -v29
	v_add_f16_e32 v34, v73, v34
	v_add_f16_e32 v33, v33, v2
	v_sub_f16_e32 v52, v52, v63
	v_add_f16_e32 v50, v74, v50
	v_add_f16_e32 v71, v71, v2
	v_fma_f16 v74, v20, 0x2fb7, -v81
	v_mul_f16_e32 v60, 0x2fb7, v51
	v_mul_f16_e32 v57, 0xb5ac, v21
	;; [unrolled: 1-line block ×3, first 2 shown]
	v_add_f16_sdwa v34, v34, v2 dst_sel:DWORD dst_unused:UNUSED_PAD src0_sel:DWORD src1_sel:WORD_1
	v_add_f16_e32 v71, v74, v71
	v_fma_f16 v74, v22, 0x388b, -v85
	v_add_f16_e32 v54, v80, v54
	v_add_f16_e32 v33, v52, v33
	v_sub_f16_e32 v52, v59, v66
	v_mul_f16_e32 v67, 0xb5ac, v49
	v_add_f16_e32 v71, v74, v71
	v_fma_f16 v74, v21, 0xbbc4, -v109
	v_mul_f16_e32 v64, 0xb9fd, v23
	v_fmamk_f16 v116, v38, 0xb5ac, v87
	v_add_f16_e32 v34, v54, v34
	v_add_f16_e32 v54, v84, v60
	;; [unrolled: 1-line block ×3, first 2 shown]
	v_fma_f16 v74, v23, 0x3b15, -v112
	v_fma_f16 v30, v39, 0xb9fd, -v30
	v_add_f16_e32 v33, v52, v33
	v_sub_f16_e32 v52, v57, v65
	v_alignbit_b32 v32, v2, v2, 16
	v_add_f16_e32 v71, v74, v71
	v_fma_f16 v74, v31, 0xb5ac, -v114
	v_mul_f16_e32 v72, 0xb9fd, v53
	v_mul_f16_e32 v82, 0xbbc4, v31
	;; [unrolled: 1-line block ×3, first 2 shown]
	v_add_f16_e32 v50, v116, v50
	v_add_f16_e32 v71, v74, v71
	v_mul_f16_sdwa v74, v13, v26 dst_sel:DWORD dst_unused:UNUSED_PAD src0_sel:WORD_1 src1_sel:DWORD
	v_mul_f16_e32 v116, 0xbbf1, v13
	v_mul_f16_sdwa v120, v14, v36 dst_sel:DWORD dst_unused:UNUSED_PAD src0_sel:WORD_1 src1_sel:DWORD
	v_add_f16_e32 v34, v54, v34
	v_add_f16_e32 v54, v89, v67
	v_fma_f16 v119, v19, 0xb5ac, -v74
	v_add_f16_sdwa v30, v30, v2 dst_sel:DWORD dst_unused:UNUSED_PAD src0_sel:DWORD src1_sel:WORD_1
	v_fma_f16 v35, v48, 0x2fb7, -v35
	v_add_f16_e32 v33, v52, v33
	v_sub_f16_e32 v52, v64, v68
	v_fmamk_f16 v88, v39, 0xb5ac, v83
	v_mul_f16_e32 v108, 0x394e, v14
	v_mul_f16_e32 v117, 0xbbc4, v38
	v_fmamk_f16 v122, v39, 0x2fb7, v116
	v_mul_f16_e32 v123, 0xb3a8, v14
	v_add_f16_e32 v119, v119, v2
	v_fma_f16 v124, v20, 0xb9fd, -v120
	v_mul_f16_sdwa v125, v15, v37 dst_sel:DWORD dst_unused:UNUSED_PAD src0_sel:WORD_1 src1_sel:DWORD
	v_add_f16_e32 v34, v54, v34
	v_add_f16_e32 v54, v107, v72
	;; [unrolled: 1-line block ×3, first 2 shown]
	v_fma_f16 v35, v51, 0x388b, -v55
	v_add_f16_e32 v33, v52, v33
	v_sub_f16_e32 v52, v82, v70
	v_pk_add_f16 v3, v3, v32 op_sel:[0,1] op_sel_hi:[1,0]
	v_add_f16_sdwa v88, v88, v2 dst_sel:DWORD dst_unused:UNUSED_PAD src0_sel:DWORD src1_sel:WORD_1
	v_fmamk_f16 v110, v48, 0xb9fd, v108
	v_mul_f16_e32 v111, 0x3770, v15
	v_add_f16_sdwa v122, v122, v2 dst_sel:DWORD dst_unused:UNUSED_PAD src0_sel:DWORD src1_sel:WORD_1
	v_fmamk_f16 v126, v48, 0xbbc4, v123
	v_mul_f16_e32 v127, 0x3b7b, v15
	v_add_f16_e32 v119, v124, v119
	v_fma_f16 v124, v22, 0x3b15, -v125
	v_mul_f16_sdwa v27, v16, v27 dst_sel:DWORD dst_unused:UNUSED_PAD src0_sel:WORD_1 src1_sel:DWORD
	v_add_f16_e32 v34, v54, v34
	v_add_f16_e32 v54, v86, v117
	;; [unrolled: 1-line block ×3, first 2 shown]
	v_fma_f16 v35, v49, 0xbbc4, -v62
	v_add_f16_e32 v33, v52, v33
	v_fma_f16 v52, v39, 0xb5ac, -v83
	v_fma_f16 v39, v39, 0x2fb7, -v116
	v_pk_add_f16 v3, v10, v3
	v_add_f16_e32 v88, v110, v88
	v_fmamk_f16 v110, v51, 0x3b15, v111
	v_mul_f16_e32 v113, 0xbbf1, v16
	v_add_f16_e32 v122, v126, v122
	v_fmamk_f16 v126, v51, 0xb5ac, v127
	v_mul_f16_e32 v128, 0x3770, v16
	v_add_f16_e32 v119, v124, v119
	v_fma_f16 v124, v21, 0x2fb7, -v27
	v_mul_f16_sdwa v56, v17, v56 dst_sel:DWORD dst_unused:UNUSED_PAD src0_sel:WORD_1 src1_sel:DWORD
	v_add_f16_e32 v34, v54, v34
	v_add_f16_e32 v30, v35, v30
	v_fma_f16 v35, v53, 0x3b15, -v69
	v_fma_f16 v54, v48, 0xb9fd, -v108
	v_add_f16_sdwa v39, v39, v2 dst_sel:DWORD dst_unused:UNUSED_PAD src0_sel:DWORD src1_sel:WORD_1
	v_fma_f16 v48, v48, 0xbbc4, -v123
	v_pk_add_f16 v3, v11, v3
	v_add_f16_e32 v88, v110, v88
	v_fmamk_f16 v110, v49, 0x2fb7, v113
	v_mul_f16_e32 v115, 0x33a8, v17
	v_add_f16_e32 v122, v126, v122
	v_fmamk_f16 v126, v49, 0x3b15, v128
	v_mul_f16_e32 v129, 0xba95, v17
	v_add_f16_e32 v119, v124, v119
	v_fma_f16 v124, v23, 0xbbc4, -v56
	v_mul_f16_sdwa v58, v18, v58 dst_sel:DWORD dst_unused:UNUSED_PAD src0_sel:WORD_1 src1_sel:DWORD
	v_add_f16_e32 v30, v35, v30
	v_fma_f16 v35, v38, 0xb5ac, -v87
	v_add_f16_sdwa v52, v52, v2 dst_sel:DWORD dst_unused:UNUSED_PAD src0_sel:DWORD src1_sel:WORD_1
	v_fmac_f16_e32 v74, 0xb5ac, v19
	v_add_f16_e32 v39, v48, v39
	v_fma_f16 v48, v51, 0xb5ac, -v127
	v_pk_add_f16 v3, v8, v3
	v_add_f16_e32 v88, v110, v88
	v_fmamk_f16 v110, v53, 0xbbc4, v115
	v_add_f16_e32 v122, v126, v122
	v_fmamk_f16 v126, v53, 0x388b, v129
	v_mul_f16_e32 v130, 0xb94e, v18
	v_add_f16_e32 v119, v124, v119
	v_fma_f16 v124, v31, 0x388b, -v58
	v_add_f16_e32 v30, v35, v30
	v_add_f16_e32 v35, v54, v52
	v_add_f16_e32 v54, v74, v2
	v_fmac_f16_e32 v120, 0xb9fd, v20
	v_add_f16_e32 v39, v48, v39
	v_fma_f16 v48, v49, 0x3b15, -v128
	v_pk_add_f16 v3, v9, v3
	v_add_f16_e32 v88, v110, v88
	v_mul_f16_e32 v110, 0x388b, v38
	v_add_f16_e32 v122, v126, v122
	v_fmamk_f16 v126, v38, 0xb9fd, v130
	v_add_f16_e32 v119, v124, v119
	v_pk_mul_f16 v124, 0x388b2fb7, v19
	v_add_f16_e32 v54, v120, v54
	v_fmac_f16_e32 v125, 0x3b15, v22
	v_add_f16_e32 v39, v48, v39
	v_fma_f16 v48, v53, 0x388b, -v129
	v_pk_add_f16 v3, v6, v3
	v_fmamk_f16 v121, v18, 0x3a95, v110
	v_mul_f16_sdwa v25, v13, v25 dst_sel:DWORD dst_unused:UNUSED_PAD src0_sel:WORD_1 src1_sel:DWORD
	v_add_f16_e32 v122, v126, v122
	v_pk_mul_f16 v126, 0xb5acbbc4, v20
	v_fma_f16 v52, v51, 0x3b15, -v111
	v_add_f16_e32 v51, v125, v54
	v_fmac_f16_e32 v27, 0x2fb7, v21
	v_pk_fma_f16 v54, 0xbbf1ba95, v13, v124 op_sel:[0,0,1] op_sel_hi:[1,1,0]
	v_add_f16_e32 v39, v48, v39
	v_fma_f16 v10, v38, 0xb9fd, -v130
	v_pk_fma_f16 v11, 0xbbf1ba95, v13, v124 op_sel:[0,0,1] op_sel_hi:[1,1,0] neg_lo:[0,1,0] neg_hi:[0,1,0]
	v_pk_add_f16 v3, v7, v3
	v_add_f16_e32 v88, v121, v88
	v_fma_f16 v121, v19, 0x388b, -v25
	v_mul_f16_sdwa v26, v14, v26 dst_sel:DWORD dst_unused:UNUSED_PAD src0_sel:WORD_1 src1_sel:DWORD
	v_pk_mul_f16 v132, 0xbbc4b5ac, v22
	v_fmac_f16_e32 v29, 0xb9fd, v19
	v_add_f16_e32 v35, v52, v35
	v_fma_f16 v52, v49, 0x2fb7, -v113
	v_add_f16_e32 v27, v27, v51
	v_pk_fma_f16 v51, 0xb3a8bb7b, v14, v126 op_sel:[0,0,1] op_sel_hi:[1,1,0]
	v_add_f16_e32 v10, v10, v39
	v_fmac_f16_e32 v25, 0x388b, v19
	v_pk_fma_f16 v8, 0xb3a8bb7b, v14, v126 op_sel:[0,0,1] op_sel_hi:[1,1,0] neg_lo:[0,1,0] neg_hi:[0,1,0]
	v_add_f16_e32 v39, v11, v32
	v_pk_add_f16 v3, v4, v3
	v_bfi_b32 v4, 0xffff, v54, v11
	v_add_f16_e32 v121, v121, v2
	v_fma_f16 v131, v20, 0xb5ac, -v26
	v_mul_f16_sdwa v28, v15, v28 dst_sel:DWORD dst_unused:UNUSED_PAD src0_sel:WORD_1 src1_sel:DWORD
	v_pk_mul_f16 v73, 0xb9fd3b15, v21
	v_add_f16_e32 v29, v29, v2
	v_add_f16_e32 v35, v52, v35
	v_fma_f16 v52, v53, 0xbbc4, -v115
	v_pk_fma_f16 v53, 0x3b7bb3a8, v15, v132 op_sel:[0,0,1] op_sel_hi:[1,1,0]
	v_add_f16_e32 v2, v25, v2
	v_fmac_f16_e32 v26, 0xb5ac, v20
	v_pk_fma_f16 v25, 0x3b7bb3a8, v15, v132 op_sel:[0,0,1] op_sel_hi:[1,1,0] neg_lo:[0,1,0] neg_hi:[0,1,0]
	v_add_f16_e32 v39, v8, v39
	v_pk_add_f16 v3, v5, v3
	v_pk_add_f16 v4, v4, v32
	v_bfi_b32 v5, 0xffff, v51, v8
	v_add_f16_e32 v121, v131, v121
	v_fma_f16 v131, v22, 0xbbc4, -v28
	v_mul_f16_sdwa v36, v16, v36 dst_sel:DWORD dst_unused:UNUSED_PAD src0_sel:WORD_1 src1_sel:DWORD
	v_pk_mul_f16 v80, 0x2fb7388b, v23
	v_pk_fma_f16 v48, 0x3770394e, v16, v73 op_sel:[0,0,1] op_sel_hi:[1,1,0]
	v_add_f16_e32 v2, v26, v2
	v_fmac_f16_e32 v28, 0xbbc4, v22
	v_pk_fma_f16 v6, 0x3770394e, v16, v73 op_sel:[0,0,1] op_sel_hi:[1,1,0] neg_lo:[0,1,0] neg_hi:[0,1,0]
	v_add_f16_e32 v39, v25, v39
	v_pk_add_f16 v4, v5, v4
	v_bfi_b32 v5, 0xffff, v53, v25
	v_add_f16_e32 v121, v131, v121
	v_fma_f16 v131, v21, 0xb9fd, -v36
	v_mul_f16_sdwa v12, v17, v12 dst_sel:DWORD dst_unused:UNUSED_PAD src0_sel:WORD_1 src1_sel:DWORD
	v_pk_mul_f16 v60, 0x3b15b9fd, v31
	v_pk_fma_f16 v9, 0xba953bf1, v17, v80 op_sel:[0,0,1] op_sel_hi:[1,1,0]
	v_pk_fma_f16 v26, 0xba953bf1, v17, v80 op_sel:[0,0,1] op_sel_hi:[1,1,0] neg_lo:[0,1,0] neg_hi:[0,1,0]
	v_add_f16_e32 v2, v28, v2
	v_fmac_f16_e32 v36, 0xb9fd, v21
	v_add_f16_e32 v28, v6, v39
	v_pk_add_f16 v0, v0, v3
	v_pk_add_f16 v4, v5, v4
	v_bfi_b32 v5, 0xffff, v48, v6
	v_add_f16_e32 v84, v131, v121
	v_fma_f16 v121, v23, 0x2fb7, -v12
	v_pk_fma_f16 v7, 0xb94e3770, v18, v60 op_sel:[0,0,1] op_sel_hi:[1,1,0] neg_lo:[0,1,0] neg_hi:[0,1,0]
	v_add_f16_e32 v2, v36, v2
	v_fmac_f16_e32 v12, 0x2fb7, v23
	v_add_f16_e32 v11, v26, v28
	v_pk_add_f16 v0, v1, v0
	v_pk_mul_f16 v8, 0xbbc4, v19 op_sel_hi:[0,1]
	v_pk_add_f16 v4, v5, v4
	v_bfi_b32 v5, 0xffff, v9, v26
	v_pk_add_f16 v49, v54, v32
	v_add_f16_e32 v2, v12, v2
	v_add_f16_e32 v3, v7, v11
	v_lshl_add_u32 v1, v105, 2, v104
	v_pk_add_f16 v0, v24, v0
	v_pack_b32_f16 v6, v33, v34
	v_pk_fma_f16 v11, 0xb3a8, v13, v8 op_sel:[0,0,1] op_sel_hi:[0,1,0] neg_lo:[0,1,0] neg_hi:[0,1,0]
	v_pk_mul_f16 v12, 0x3b15, v20 op_sel_hi:[0,1]
	v_pk_add_f16 v4, v5, v4
	v_pk_fma_f16 v5, 0xb3a8, v13, v8 op_sel:[0,0,1] op_sel_hi:[0,1,0]
	v_pk_add_f16 v49, v51, v49
	ds_write2_b32 v1, v0, v6 offset1:1
	v_pk_add_f16 v0, v11, v32
	v_pk_fma_f16 v6, 0x3770, v14, v12 op_sel:[0,0,1] op_sel_hi:[0,1,0] neg_lo:[0,1,0] neg_hi:[0,1,0]
	v_pk_mul_f16 v11, 0xb9fd, v22 op_sel_hi:[0,1]
	v_pk_add_f16 v5, v5, v32
	v_pk_fma_f16 v12, 0x3770, v14, v12 op_sel:[0,0,1] op_sel_hi:[0,1,0]
	v_fmac_f16_e32 v81, 0x2fb7, v20
	v_pk_add_f16 v38, v53, v49
	v_pk_fma_f16 v8, 0xb94e3770, v18, v60 op_sel:[0,0,1] op_sel_hi:[1,1,0]
	v_pk_add_f16 v0, v6, v0
	v_pk_fma_f16 v6, 0xb94e, v15, v11 op_sel:[0,0,1] op_sel_hi:[0,1,0] neg_lo:[0,1,0] neg_hi:[0,1,0]
	v_pk_mul_f16 v13, 0x388b, v21 op_sel_hi:[0,1]
	v_pk_add_f16 v5, v12, v5
	v_pk_fma_f16 v11, 0xb94e, v15, v11 op_sel:[0,0,1] op_sel_hi:[0,1,0]
	v_add_f16_e32 v29, v81, v29
	v_fmac_f16_e32 v85, 0x388b, v22
	v_mul_f16_e32 v118, 0x3a95, v18
	v_pk_add_f16 v38, v48, v38
	v_mul_f16_sdwa v37, v18, v37 dst_sel:DWORD dst_unused:UNUSED_PAD src0_sel:WORD_1 src1_sel:DWORD
	v_bfi_b32 v7, 0xffff, v8, v7
	v_pk_add_f16 v0, v6, v0
	v_pk_fma_f16 v6, 0x3a95, v16, v13 op_sel:[0,0,1] op_sel_hi:[0,1,0] neg_lo:[0,1,0] neg_hi:[0,1,0]
	v_pk_mul_f16 v8, 0xb5ac, v23 op_sel_hi:[0,1]
	v_pk_add_f16 v5, v11, v5
	v_pk_fma_f16 v11, 0x3a95, v16, v13 op_sel:[0,0,1] op_sel_hi:[0,1,0]
	v_add_f16_e32 v29, v85, v29
	v_fmac_f16_e32 v109, 0xbbc4, v21
	v_pk_mul_f16 v67, 0xb94e3770, v18
	v_bfi_b32 v13, 0xffff, v118, v38
	v_add_f16_e32 v61, v121, v84
	v_fma_f16 v84, v31, 0x3b15, -v37
	v_pk_add_f16 v4, v7, v4
	v_pk_add_f16 v0, v6, v0
	v_pk_fma_f16 v6, 0xbb7b, v17, v8 op_sel:[0,0,1] op_sel_hi:[0,1,0] neg_lo:[0,1,0] neg_hi:[0,1,0]
	v_pk_mul_f16 v7, 0x2fb7, v31 op_sel_hi:[0,1]
	v_pk_add_f16 v5, v11, v5
	v_pk_fma_f16 v8, 0xbb7b, v17, v8 op_sel:[0,0,1] op_sel_hi:[0,1,0]
	v_add_f16_e32 v29, v109, v29
	v_fmac_f16_e32 v112, 0x3b15, v23
	v_fmac_f16_e32 v56, 0xbbc4, v23
	v_pk_add_f16 v11, v110, v13 neg_lo:[0,1] neg_hi:[0,1]
	v_pk_add_f16 v9, v9, v38
	v_pack_b32_f16 v13, v52, v60
	v_bfi_b32 v14, 0xffff, v35, v67
	v_add_f16_e32 v61, v84, v61
	v_pk_add_f16 v0, v6, v0
	v_pk_fma_f16 v6, 0x3bf1, v18, v7 op_sel:[0,0,1] op_sel_hi:[0,1,0] neg_lo:[0,1,0] neg_hi:[0,1,0]
	v_pk_add_f16 v5, v8, v5
	v_pk_fma_f16 v7, 0x3bf1, v18, v7 op_sel:[0,0,1] op_sel_hi:[0,1,0]
	v_add_f16_e32 v29, v112, v29
	v_fmac_f16_e32 v114, 0xb5ac, v31
	v_add_f16_e32 v27, v56, v27
	v_fmac_f16_e32 v58, 0x388b, v31
	v_bfi_b32 v8, 0xffff, v11, v9
	v_pk_add_f16 v9, v13, v14
	v_fmac_f16_e32 v37, 0x3b15, v31
	v_alignbit_b32 v12, v122, v4, 16
	v_pack_b32_f16 v4, v61, v4
	v_pk_add_f16 v0, v6, v0
	v_pk_add_f16 v5, v7, v5
	v_add_f16_e32 v29, v114, v29
	v_add_f16_e32 v27, v58, v27
	v_pk_add_f16 v6, v8, v9
	v_add_f16_e32 v2, v37, v2
	ds_write2_b32 v1, v4, v12 offset0:2 offset1:3
	v_pack_b32_f16 v4, v71, v50
	v_pack_b32_f16 v7, v119, v88
	v_alignbit_b32 v8, v0, v5, 16
	v_alignbit_b32 v0, v5, v0, 16
	v_pack_b32_f16 v5, v29, v30
	v_alignbit_b32 v9, v10, v6, 16
	v_pack_b32_f16 v6, v27, v6
	v_pack_b32_f16 v2, v2, v3
	v_perm_b32 v3, v76, v75, 0x5040100
	ds_write2_b32 v1, v7, v4 offset0:4 offset1:5
	ds_write2_b32 v1, v0, v8 offset0:6 offset1:7
	ds_write_b32 v1, v5 offset:32
	ds_write2_b32 v1, v6, v9 offset0:9 offset1:10
	ds_write2_b32 v1, v2, v3 offset0:11 offset1:12
.LBB0_7:
	s_or_b32 exec_lo, exec_lo, s0
	v_and_b32_e32 v0, 0xff, v44
	v_and_b32_e32 v1, 0xff, v77
	v_add_co_u32 v20, s0, 0x4e, v44
	v_add_co_ci_u32_e64 v21, null, 0, 0, s0
	v_mul_lo_u16 v0, 0x4f, v0
	v_add_co_u32 v22, s0, 0x75, v44
	v_add_co_ci_u32_e64 v23, null, 0, 0, s0
	v_lshrrev_b16 v35, 10, v0
	v_mul_lo_u16 v0, 0x4f, v1
	v_and_b32_e32 v48, 0xff, v22
	v_add_co_u32 v32, s0, 0x9c, v44
	v_mul_lo_u16 v1, v35, 13
	v_lshrrev_b16 v30, 10, v0
	v_mov_b32_e32 v0, 4
	v_and_b32_e32 v49, 0xff, v32
	s_waitcnt lgkmcnt(0)
	v_sub_nc_u16 v37, v44, v1
	v_mul_lo_u16 v1, v30, 13
	s_barrier
	buffer_gl0_inv
	v_add_nc_u32_e32 v36, 0x400, v90
	v_lshlrev_b32_sdwa v2, v0, v37 dst_sel:DWORD dst_unused:UNUSED_PAD src0_sel:DWORD src1_sel:BYTE_0
	v_sub_nc_u16 v31, v77, v1
	v_and_b32_e32 v1, 0xff, v20
	v_add_nc_u32_e32 v34, 0x800, v90
	v_add_nc_u32_e32 v38, 0xc00, v90
	global_load_dwordx4 v[12:15], v2, s[2:3]
	v_lshlrev_b32_sdwa v2, v0, v31 dst_sel:DWORD dst_unused:UNUSED_PAD src0_sel:DWORD src1_sel:BYTE_0
	v_mul_lo_u16 v1, 0x4f, v1
	v_add_nc_u32_e32 v80, 0x200, v90
	v_add_co_ci_u32_e64 v33, null, 0, 0, s0
	global_load_dwordx4 v[4:7], v2, s[2:3]
	v_lshrrev_b16 v39, 10, v1
	v_mul_lo_u16 v1, 0x4f, v48
	v_cmp_gt_u16_e64 s0, 13, v44
	v_mul_lo_u16 v2, v39, 13
	v_lshrrev_b16 v52, 10, v1
	v_mul_lo_u16 v1, 0x4f, v49
	v_sub_nc_u16 v56, v20, v2
	v_mul_lo_u16 v2, v52, 13
	v_lshrrev_b16 v50, 10, v1
	v_lshlrev_b32_sdwa v3, v0, v56 dst_sel:DWORD dst_unused:UNUSED_PAD src0_sel:DWORD src1_sel:BYTE_0
	v_sub_nc_u16 v53, v22, v2
	v_mul_lo_u16 v1, v50, 13
	global_load_dwordx4 v[16:19], v3, s[2:3]
	v_lshlrev_b32_sdwa v2, v0, v53 dst_sel:DWORD dst_unused:UNUSED_PAD src0_sel:DWORD src1_sel:BYTE_0
	v_sub_nc_u16 v51, v32, v1
	global_load_dwordx4 v[8:11], v2, s[2:3]
	v_lshlrev_b32_sdwa v0, v0, v51 dst_sel:DWORD dst_unused:UNUSED_PAD src0_sel:DWORD src1_sel:BYTE_0
	global_load_dwordx4 v[0:3], v0, s[2:3]
	ds_read2_b32 v[28:29], v90 offset1:39
	ds_read2_b32 v[24:25], v90 offset0:156 offset1:195
	ds_read2_b32 v[26:27], v90 offset0:78 offset1:117
	ds_read_b32 v85, v90 offset:3744
	ds_read2_b32 v[60:61], v36 offset0:134 offset1:173
	ds_read2_b32 v[63:64], v34 offset0:34 offset1:73
	;; [unrolled: 1-line block ×9, first 2 shown]
	s_waitcnt vmcnt(0) lgkmcnt(0)
	s_barrier
	buffer_gl0_inv
	v_lshrrev_b32_e32 v86, 16, v85
	v_lshrrev_b32_e32 v87, 16, v60
	v_lshrrev_b32_e32 v88, 16, v64
	v_lshrrev_b32_e32 v89, 16, v65
	v_lshrrev_b32_e32 v107, 16, v67
	v_lshrrev_b32_e32 v108, 16, v61
	v_lshrrev_b32_e32 v109, 16, v69
	v_lshrrev_b32_e32 v62, 16, v25
	v_lshrrev_b32_e32 v110, 16, v66
	v_lshrrev_b32_e32 v111, 16, v68
	v_lshrrev_b32_e32 v112, 16, v71
	v_lshrrev_b32_e32 v113, 16, v70
	v_lshrrev_b32_e32 v114, 16, v73
	v_lshrrev_b32_e32 v115, 16, v81
	v_lshrrev_b32_e32 v116, 16, v72
	v_lshrrev_b32_e32 v119, 16, v82
	v_lshrrev_b32_e32 v120, 16, v63
	v_lshrrev_b32_e32 v121, 16, v84
	v_lshrrev_b32_e32 v59, 16, v28
	v_lshrrev_b32_e32 v58, 16, v29
	v_lshrrev_b32_e32 v117, 16, v83
	v_lshrrev_b32_e32 v118, 16, v74
	v_lshrrev_b32_e32 v57, 16, v26
	v_lshrrev_b32_e32 v55, 16, v27
	v_lshrrev_b32_e32 v54, 16, v24
	v_mul_f16_sdwa v122, v62, v12 dst_sel:DWORD dst_unused:UNUSED_PAD src0_sel:DWORD src1_sel:WORD_1
	v_mul_f16_sdwa v123, v25, v12 dst_sel:DWORD dst_unused:UNUSED_PAD src0_sel:DWORD src1_sel:WORD_1
	;; [unrolled: 1-line block ×16, first 2 shown]
	v_fma_f16 v122, v25, v12, -v122
	v_fmac_f16_e32 v123, v62, v12
	v_fma_f16 v124, v60, v13, -v124
	v_fmac_f16_e32 v125, v87, v13
	;; [unrolled: 2-line block ×8, first 2 shown]
	v_mul_f16_sdwa v64, v111, v16 dst_sel:DWORD dst_unused:UNUSED_PAD src0_sel:DWORD src1_sel:WORD_1
	v_mul_f16_sdwa v108, v68, v16 dst_sel:DWORD dst_unused:UNUSED_PAD src0_sel:DWORD src1_sel:WORD_1
	;; [unrolled: 1-line block ×24, first 2 shown]
	v_fma_f16 v68, v68, v16, -v64
	v_fmac_f16_e32 v108, v111, v16
	v_fma_f16 v71, v71, v17, -v65
	v_fmac_f16_e32 v109, v112, v17
	;; [unrolled: 2-line block ×6, first 2 shown]
	v_fmac_f16_e32 v139, v117, v10
	v_fmac_f16_e32 v141, v118, v11
	v_fma_f16 v65, v82, v0, -v142
	v_fma_f16 v63, v63, v1, -v143
	v_fmac_f16_e32 v62, v120, v1
	v_fma_f16 v64, v84, v2, -v144
	v_fmac_f16_e32 v25, v121, v2
	v_fma_f16 v66, v85, v3, -v145
	v_add_f16_e32 v82, v28, v122
	v_add_f16_e32 v84, v124, v87
	v_sub_f16_e32 v85, v123, v129
	v_sub_f16_e32 v111, v122, v124
	;; [unrolled: 1-line block ×3, first 2 shown]
	v_add_f16_e32 v113, v122, v88
	v_sub_f16_e32 v114, v124, v122
	v_sub_f16_e32 v115, v87, v88
	v_add_f16_e32 v116, v59, v123
	v_add_f16_e32 v117, v125, v127
	v_sub_f16_e32 v118, v122, v88
	v_sub_f16_e32 v120, v123, v125
	;; [unrolled: 1-line block ×3, first 2 shown]
	v_add_f16_e32 v122, v123, v129
	v_sub_f16_e32 v123, v125, v123
	v_sub_f16_e32 v126, v127, v129
	v_add_f16_e32 v130, v29, v67
	v_add_f16_e32 v134, v89, v69
	v_sub_f16_e32 v142, v67, v89
	v_sub_f16_e32 v143, v107, v69
	;; [unrolled: 1-line block ×4, first 2 shown]
	v_add_f16_e32 v147, v58, v131
	v_add_f16_e32 v148, v133, v135
	;; [unrolled: 1-line block ×3, first 2 shown]
	v_fma_f16 v83, v83, v10, -v138
	v_fma_f16 v74, v74, v11, -v140
	v_fmac_f16_e32 v61, v86, v3
	v_sub_f16_e32 v86, v125, v127
	v_sub_f16_e32 v138, v131, v137
	v_add_f16_e32 v144, v67, v107
	v_sub_f16_e32 v149, v89, v69
	v_sub_f16_e32 v150, v131, v133
	;; [unrolled: 1-line block ×5, first 2 shown]
	v_add_f16_e32 v82, v82, v124
	v_fma_f16 v84, -0.5, v84, v28
	v_add_f16_e32 v111, v111, v112
	v_fma_f16 v28, -0.5, v113, v28
	v_add_f16_e32 v112, v114, v115
	v_add_f16_e32 v113, v116, v125
	v_fma_f16 v114, -0.5, v117, v59
	v_add_f16_e32 v115, v120, v121
	v_fmac_f16_e32 v59, -0.5, v122
	v_add_f16_e32 v116, v123, v126
	v_add_f16_e32 v89, v130, v89
	v_fma_f16 v117, -0.5, v134, v29
	v_add_f16_e32 v120, v142, v143
	v_add_f16_e32 v121, v145, v146
	;; [unrolled: 1-line block ×3, first 2 shown]
	v_fma_f16 v123, -0.5, v148, v58
	v_fmac_f16_e32 v58, -0.5, v152
	v_add_f16_e32 v126, v26, v68
	v_add_f16_e32 v130, v71, v70
	v_sub_f16_e32 v134, v68, v71
	v_sub_f16_e32 v142, v73, v70
	v_add_f16_e32 v146, v57, v108
	v_add_f16_e32 v147, v109, v110
	v_add_f16_e32 v152, v108, v128
	v_add_f16_e32 v154, v27, v81
	v_add_f16_e32 v163, v55, v132
	v_fmac_f16_e32 v60, v119, v0
	v_sub_f16_e32 v119, v124, v87
	v_sub_f16_e32 v140, v133, v135
	;; [unrolled: 1-line block ×3, first 2 shown]
	v_fmac_f16_e32 v29, -0.5, v144
	v_add_f16_e32 v124, v150, v151
	v_add_f16_e32 v125, v131, v153
	v_sub_f16_e32 v131, v108, v128
	v_sub_f16_e32 v133, v109, v110
	v_add_f16_e32 v143, v68, v73
	v_sub_f16_e32 v144, v71, v68
	v_sub_f16_e32 v148, v71, v70
	;; [unrolled: 1-line block ×5, first 2 shown]
	v_add_f16_e32 v155, v72, v83
	v_sub_f16_e32 v158, v81, v72
	v_add_f16_e32 v160, v81, v74
	v_sub_f16_e32 v161, v72, v81
	v_sub_f16_e32 v165, v81, v74
	;; [unrolled: 1-line block ×5, first 2 shown]
	v_add_f16_e32 v82, v82, v87
	v_fmamk_f16 v169, v86, 0xbb9c, v28
	v_fmac_f16_e32 v28, 0x3b9c, v86
	v_add_f16_e32 v113, v113, v127
	v_fmamk_f16 v172, v149, 0x3b9c, v58
	v_fmac_f16_e32 v58, 0xbb9c, v149
	v_add_f16_e32 v71, v126, v71
	v_fma_f16 v126, -0.5, v130, v26
	v_add_f16_e32 v130, v134, v142
	v_add_f16_e32 v109, v146, v109
	v_fma_f16 v142, -0.5, v147, v57
	v_fmac_f16_e32 v57, -0.5, v152
	v_add_f16_e32 v72, v154, v72
	v_add_f16_e32 v147, v163, v136
	v_sub_f16_e32 v68, v68, v73
	v_sub_f16_e32 v153, v110, v128
	v_fmamk_f16 v87, v85, 0x3b9c, v84
	v_fmac_f16_e32 v84, 0xbb9c, v85
	v_fmamk_f16 v127, v118, 0xbb9c, v114
	v_fmac_f16_e32 v114, 0x3b9c, v118
	v_add_f16_e32 v122, v122, v135
	v_fmamk_f16 v135, v67, 0xbb9c, v123
	v_fmac_f16_e32 v123, 0x3b9c, v67
	v_fma_f16 v26, -0.5, v143, v26
	v_add_f16_e32 v143, v150, v151
	v_add_f16_e32 v151, v81, v167
	;; [unrolled: 1-line block ×3, first 2 shown]
	v_fmac_f16_e32 v169, 0x38b4, v85
	v_fmac_f16_e32 v28, 0xb8b4, v85
	v_add_f16_e32 v85, v113, v129
	v_fmac_f16_e32 v172, 0xb8b4, v67
	v_fmac_f16_e32 v58, 0x38b4, v67
	v_add_f16_e32 v67, v71, v70
	v_add_f16_e32 v81, v109, v110
	v_fmamk_f16 v113, v148, 0x3b9c, v57
	v_fmac_f16_e32 v57, 0xbb9c, v148
	v_add_f16_e32 v72, v72, v83
	v_add_f16_e32 v82, v147, v139
	v_sub_f16_e32 v145, v70, v73
	v_sub_f16_e32 v159, v74, v83
	;; [unrolled: 1-line block ×3, first 2 shown]
	v_add_f16_e32 v164, v136, v139
	v_add_f16_e32 v168, v132, v141
	v_fmamk_f16 v170, v119, 0x3b9c, v59
	v_fmac_f16_e32 v59, 0xbb9c, v119
	v_add_f16_e32 v69, v89, v69
	v_add_f16_e32 v108, v108, v153
	v_fmac_f16_e32 v127, 0xb8b4, v119
	v_fmac_f16_e32 v114, 0x38b4, v119
	v_fmamk_f16 v109, v68, 0xbb9c, v142
	v_fmac_f16_e32 v142, 0x3b9c, v68
	v_add_f16_e32 v67, v67, v73
	v_add_f16_e32 v73, v81, v128
	v_fmac_f16_e32 v113, 0xb8b4, v68
	v_fmac_f16_e32 v57, 0x38b4, v68
	v_add_f16_e32 v68, v72, v74
	v_add_f16_e32 v72, v82, v141
	v_sub_f16_e32 v74, v136, v132
	v_sub_f16_e32 v81, v139, v141
	v_add_f16_e32 v82, v63, v64
	v_fma_f16 v150, -0.5, v164, v55
	v_fmac_f16_e32 v55, -0.5, v168
	v_fmac_f16_e32 v170, 0xb8b4, v118
	v_fmac_f16_e32 v59, 0x38b4, v118
	v_add_f16_e32 v69, v69, v107
	v_fmac_f16_e32 v127, 0x34f2, v115
	v_fmac_f16_e32 v114, 0x34f2, v115
	;; [unrolled: 1-line block ×4, first 2 shown]
	v_add_f16_e32 v74, v74, v81
	v_add_f16_e32 v107, v24, v65
	v_fma_f16 v81, -0.5, v82, v24
	v_sub_f16_e32 v108, v60, v61
	v_add_f16_e32 v115, v65, v66
	v_fmamk_f16 v89, v138, 0x3b9c, v117
	v_fmac_f16_e32 v117, 0xbb9c, v138
	v_fmac_f16_e32 v87, 0x38b4, v86
	;; [unrolled: 1-line block ×3, first 2 shown]
	v_add_f16_e32 v86, v122, v137
	v_fmamk_f16 v122, v166, 0x3b9c, v55
	v_fmac_f16_e32 v169, 0x34f2, v112
	v_fmac_f16_e32 v28, 0x34f2, v112
	;; [unrolled: 1-line block ×5, first 2 shown]
	v_add_f16_e32 v82, v107, v63
	v_fmamk_f16 v112, v108, 0x3b9c, v81
	v_sub_f16_e32 v107, v62, v25
	v_fmac_f16_e32 v24, -0.5, v115
	v_fmac_f16_e32 v81, 0xbb9c, v108
	v_add_f16_e32 v116, v54, v60
	v_fmac_f16_e32 v89, 0x38b4, v140
	v_fmac_f16_e32 v117, 0xb8b4, v140
	;; [unrolled: 1-line block ×5, first 2 shown]
	v_sub_f16_e32 v110, v65, v63
	v_sub_f16_e32 v111, v66, v64
	v_fmac_f16_e32 v55, 0x38b4, v165
	v_add_f16_e32 v82, v82, v64
	v_fmac_f16_e32 v112, 0x38b4, v107
	v_fmamk_f16 v115, v107, 0xbb9c, v24
	v_fmac_f16_e32 v81, 0xb8b4, v107
	v_fmac_f16_e32 v24, 0x3b9c, v107
	v_add_f16_e32 v107, v116, v62
	v_fmac_f16_e32 v89, 0x34f2, v120
	v_fmac_f16_e32 v117, 0x34f2, v120
	v_fmac_f16_e32 v122, 0x34f2, v74
	v_add_f16_e32 v110, v110, v111
	v_fmac_f16_e32 v55, 0x34f2, v74
	v_add_f16_e32 v74, v82, v66
	v_sub_f16_e32 v82, v63, v65
	v_sub_f16_e32 v111, v64, v66
	v_add_f16_e32 v120, v62, v25
	v_sub_f16_e32 v65, v65, v66
	v_add_f16_e32 v66, v107, v25
	v_add_f16_e32 v107, v60, v61
	v_add_f16_e32 v111, v82, v111
	v_fma_f16 v82, -0.5, v120, v54
	v_sub_f16_e32 v63, v63, v64
	v_sub_f16_e32 v64, v60, v62
	v_fmac_f16_e32 v54, -0.5, v107
	v_sub_f16_e32 v60, v62, v60
	v_mov_b32_e32 v62, 0x41
	v_fmac_f16_e32 v115, 0x38b4, v108
	v_fmac_f16_e32 v24, 0xb8b4, v108
	v_sub_f16_e32 v108, v61, v25
	v_fmamk_f16 v120, v63, 0x3b9c, v54
	v_sub_f16_e32 v25, v25, v61
	v_fmac_f16_e32 v54, 0xbb9c, v63
	v_mul_u32_u24_sdwa v35, v35, v62 dst_sel:DWORD dst_unused:UNUSED_PAD src0_sel:WORD_0 src1_sel:DWORD
	v_fmac_f16_e32 v135, 0xb8b4, v149
	v_fmac_f16_e32 v120, 0xb8b4, v65
	v_add_f16_e32 v25, v60, v25
	v_fmac_f16_e32 v54, 0x38b4, v65
	v_add_nc_u32_sdwa v35, v35, v37 dst_sel:DWORD dst_unused:UNUSED_PAD src0_sel:DWORD src1_sel:BYTE_0
	v_mul_u32_u24_sdwa v30, v30, v62 dst_sel:DWORD dst_unused:UNUSED_PAD src0_sel:WORD_0 src1_sel:DWORD
	v_fmamk_f16 v171, v140, 0xbb9c, v29
	v_fmac_f16_e32 v29, 0x3b9c, v140
	v_sub_f16_e32 v156, v132, v141
	v_add_f16_e32 v134, v144, v145
	v_fma_f16 v144, -0.5, v155, v27
	v_fmac_f16_e32 v135, 0x34f2, v124
	v_fmac_f16_e32 v120, 0x34f2, v25
	;; [unrolled: 1-line block ×3, first 2 shown]
	v_lshl_add_u32 v107, v35, 2, v104
	v_pack_b32_f16 v25, v88, v85
	v_pack_b32_f16 v35, v87, v127
	v_add_nc_u32_sdwa v30, v30, v31 dst_sel:DWORD dst_unused:UNUSED_PAD src0_sel:DWORD src1_sel:BYTE_0
	v_pack_b32_f16 v37, v169, v170
	v_pack_b32_f16 v28, v28, v59
	v_fmac_f16_e32 v171, 0x38b4, v138
	v_fmac_f16_e32 v29, 0xb8b4, v138
	v_fmamk_f16 v70, v131, 0x3b9c, v126
	v_pack_b32_f16 v59, v84, v114
	v_fmac_f16_e32 v123, 0x38b4, v149
	v_fmamk_f16 v71, v133, 0xbb9c, v26
	v_fmac_f16_e32 v26, 0x3b9c, v133
	v_fmac_f16_e32 v126, 0xbb9c, v131
	v_sub_f16_e32 v157, v136, v139
	v_fmac_f16_e32 v27, -0.5, v160
	v_fmamk_f16 v83, v156, 0x3b9c, v144
	v_fmamk_f16 v119, v165, 0xbb9c, v150
	v_add_f16_e32 v64, v64, v108
	ds_write2_b32 v107, v25, v35 offset1:13
	ds_write2_b32 v107, v37, v28 offset0:26 offset1:39
	ds_write_b32 v107, v59 offset:208
	v_lshl_add_u32 v108, v30, 2, v104
	v_pack_b32_f16 v25, v69, v86
	v_pack_b32_f16 v30, v89, v135
	v_fmac_f16_e32 v171, 0x34f2, v121
	v_fmac_f16_e32 v29, 0x34f2, v121
	;; [unrolled: 1-line block ×6, first 2 shown]
	v_mul_u32_u24_sdwa v28, v39, v62 dst_sel:DWORD dst_unused:UNUSED_PAD src0_sel:WORD_0 src1_sel:DWORD
	v_fmac_f16_e32 v123, 0x34f2, v124
	v_fmac_f16_e32 v71, 0x38b4, v131
	;; [unrolled: 1-line block ×5, first 2 shown]
	v_add_f16_e32 v145, v158, v159
	v_fmamk_f16 v118, v157, 0xbb9c, v27
	v_fmac_f16_e32 v27, 0x3b9c, v157
	v_fmac_f16_e32 v83, 0x38b4, v157
	;; [unrolled: 1-line block ×3, first 2 shown]
	ds_write2_b32 v108, v25, v30 offset1:13
	v_mul_u32_u24_sdwa v25, v52, v62 dst_sel:DWORD dst_unused:UNUSED_PAD src0_sel:WORD_0 src1_sel:DWORD
	v_fmac_f16_e32 v144, 0xbb9c, v156
	v_fmac_f16_e32 v150, 0x3b9c, v165
	;; [unrolled: 1-line block ×4, first 2 shown]
	v_fmamk_f16 v116, v65, 0xbb9c, v82
	v_pack_b32_f16 v31, v171, v172
	v_pack_b32_f16 v29, v29, v58
	v_add_nc_u32_sdwa v28, v28, v56 dst_sel:DWORD dst_unused:UNUSED_PAD src0_sel:DWORD src1_sel:BYTE_0
	v_fmac_f16_e32 v71, 0x34f2, v134
	v_fmac_f16_e32 v26, 0x34f2, v134
	v_pack_b32_f16 v35, v117, v123
	v_fmac_f16_e32 v126, 0x34f2, v130
	v_fmac_f16_e32 v142, 0x34f2, v143
	;; [unrolled: 1-line block ×3, first 2 shown]
	v_add_f16_e32 v146, v161, v162
	v_fmac_f16_e32 v118, 0x38b4, v156
	v_fmac_f16_e32 v27, 0xb8b4, v156
	;; [unrolled: 1-line block ×4, first 2 shown]
	v_add_nc_u32_sdwa v25, v25, v53 dst_sel:DWORD dst_unused:UNUSED_PAD src0_sel:DWORD src1_sel:BYTE_0
	v_fmac_f16_e32 v144, 0xb8b4, v157
	v_fmac_f16_e32 v150, 0x38b4, v166
	;; [unrolled: 1-line block ×5, first 2 shown]
	ds_write2_b32 v108, v31, v29 offset0:26 offset1:39
	ds_write_b32 v108, v35 offset:208
	v_lshl_add_u32 v110, v28, 2, v104
	v_pack_b32_f16 v28, v67, v73
	v_pack_b32_f16 v29, v70, v109
	v_mul_u32_u24_sdwa v35, v50, v62 dst_sel:DWORD dst_unused:UNUSED_PAD src0_sel:WORD_0 src1_sel:DWORD
	v_pack_b32_f16 v30, v71, v113
	v_pack_b32_f16 v26, v26, v57
	v_fmac_f16_e32 v82, 0x38b4, v63
	v_pack_b32_f16 v31, v126, v142
	v_fmac_f16_e32 v118, 0x34f2, v146
	v_fmac_f16_e32 v27, 0x34f2, v146
	v_lshl_add_u32 v109, v25, 2, v104
	v_pack_b32_f16 v25, v68, v72
	v_pack_b32_f16 v37, v83, v119
	v_fmac_f16_e32 v144, 0x34f2, v145
	v_fmac_f16_e32 v150, 0x34f2, v151
	v_add_f16_e32 v66, v66, v61
	v_fmac_f16_e32 v116, 0x34f2, v64
	ds_write2_b32 v110, v28, v29 offset1:13
	ds_write2_b32 v110, v30, v26 offset0:26 offset1:39
	ds_write_b32 v110, v31 offset:208
	v_add_nc_u32_sdwa v26, v35, v51 dst_sel:DWORD dst_unused:UNUSED_PAD src0_sel:DWORD src1_sel:BYTE_0
	v_fmac_f16_e32 v115, 0x34f2, v111
	v_fmac_f16_e32 v24, 0x34f2, v111
	;; [unrolled: 1-line block ×3, first 2 shown]
	ds_write2_b32 v109, v25, v37 offset1:13
	v_pack_b32_f16 v25, v118, v122
	v_pack_b32_f16 v27, v27, v55
	;; [unrolled: 1-line block ×3, first 2 shown]
	v_lshl_add_u32 v111, v26, 2, v104
	v_pack_b32_f16 v26, v74, v66
	v_pack_b32_f16 v29, v112, v116
	;; [unrolled: 1-line block ×5, first 2 shown]
	ds_write2_b32 v109, v25, v27 offset0:26 offset1:39
	ds_write_b32 v109, v28 offset:208
	ds_write2_b32 v111, v26, v29 offset1:13
	ds_write2_b32 v111, v30, v24 offset0:26 offset1:39
	ds_write_b32 v111, v31 offset:208
	v_add_nc_u32_e32 v26, 0x600, v90
	s_waitcnt lgkmcnt(0)
	s_barrier
	buffer_gl0_inv
	ds_read2_b32 v[30:31], v90 offset1:39
	ds_read2_b32 v[67:68], v36 offset0:69 offset1:108
	ds_read2_b32 v[69:70], v34 offset0:138 offset1:177
	;; [unrolled: 1-line block ×11, first 2 shown]
                                        ; implicit-def: $vgpr83
                                        ; implicit-def: $vgpr84
	s_and_saveexec_b32 s1, s0
	s_cbranch_execz .LBB0_9
; %bb.8:
	ds_read_b32 v81, v90 offset:1248
	ds_read_b32 v75, v90 offset:2548
	;; [unrolled: 1-line block ×3, first 2 shown]
	s_waitcnt lgkmcnt(2)
	v_lshrrev_b32_e32 v82, 16, v81
	s_waitcnt lgkmcnt(1)
	v_lshrrev_b32_e32 v76, 16, v75
	s_waitcnt lgkmcnt(0)
	v_lshrrev_b32_e32 v84, 16, v83
.LBB0_9:
	s_or_b32 exec_lo, exec_lo, s1
	v_add_co_u32 v52, s1, 0xffffffe6, v44
	v_add_co_ci_u32_e64 v53, null, 0, -1, s1
	v_cmp_gt_u16_e64 s1, 26, v44
	v_lshlrev_b64 v[50:51], 3, v[44:45]
	v_mul_lo_u16 v45, 0xfd, v48
	v_mul_lo_u16 v49, 0xfd, v49
	v_mov_b32_e32 v60, 0xfc1
	v_cndmask_b32_e64 v86, v53, v47, s1
	v_cndmask_b32_e64 v85, v52, v77, s1
	v_add_co_u32 v47, s1, s2, v50
	v_lshrrev_b16 v45, 14, v45
	v_add_co_ci_u32_e64 v48, s1, s3, v51, s1
	v_lshlrev_b64 v[50:51], 3, v[85:86]
	v_mov_b32_e32 v53, 3
	v_mul_lo_u16 v52, 0x41, v45
	global_load_dwordx2 v[55:56], v[47:48], off offset:208
	v_lshrrev_b16 v57, 14, v49
	v_add_nc_u32_e32 v59, 0x111, v44
	v_add_co_u32 v50, s1, s2, v50
	v_add_co_ci_u32_e64 v51, s1, s3, v51, s1
	v_sub_nc_u16 v86, v22, v52
	v_add_nc_u32_e32 v61, 0x138, v44
	v_mul_u32_u24_sdwa v64, v59, v60 dst_sel:DWORD dst_unused:UNUSED_PAD src0_sel:WORD_0 src1_sel:DWORD
	global_load_dwordx2 v[51:52], v[50:51], off offset:208
	s_waitcnt lgkmcnt(10)
	v_lshrrev_b32_e32 v119, 16, v67
	v_lshlrev_b32_sdwa v50, v53, v86 dst_sel:DWORD dst_unused:UNUSED_PAD src0_sel:DWORD src1_sel:BYTE_0
	s_clause 0x1
	global_load_dwordx2 v[49:50], v50, s[2:3] offset:208
	global_load_dwordx2 v[53:54], v[47:48], off offset:312
	v_mul_lo_u16 v47, 0x41, v57
	v_add_nc_u16 v48, v44, 0xc3
	s_waitcnt lgkmcnt(9)
	v_lshrrev_b32_e32 v120, 16, v69
	v_lshrrev_b32_e32 v118, 16, v30
	;; [unrolled: 1-line block ×3, first 2 shown]
	v_sub_nc_u16 v47, v32, v47
	v_and_b32_e32 v62, 0xff, v48
	v_lshrrev_b32_e32 v123, 16, v70
	s_waitcnt lgkmcnt(7)
	v_lshrrev_b32_e32 v125, 16, v73
	s_waitcnt lgkmcnt(6)
	v_lshrrev_b32_e32 v126, 16, v71
	v_and_b32_e32 v87, 0xff, v47
	v_add_co_u32 v47, null, 0xea, v44
	v_mul_lo_u16 v62, 0xfd, v62
	v_lshrrev_b32_e32 v128, 16, v74
	v_lshlrev_b32_e32 v57, 3, v87
	v_mul_u32_u24_sdwa v63, v47, v60 dst_sel:DWORD dst_unused:UNUSED_PAD src0_sel:WORD_0 src1_sel:DWORD
	v_mul_u32_u24_sdwa v60, v61, v60 dst_sel:DWORD dst_unused:UNUSED_PAD src0_sel:WORD_0 src1_sel:DWORD
	v_lshrrev_b16 v62, 14, v62
	v_lshrrev_b32_e32 v129, 16, v72
	global_load_dwordx2 v[57:58], v57, s[2:3] offset:208
	v_lshrrev_b32_e32 v88, 18, v63
	v_lshrrev_b32_e32 v63, 18, v64
	;; [unrolled: 1-line block ×3, first 2 shown]
	v_mul_lo_u16 v62, 0x41, v62
	v_lshrrev_b32_e32 v121, 16, v31
	v_mul_lo_u16 v64, 0x41, v88
	v_mul_lo_u16 v63, 0x41, v63
	v_mul_lo_u16 v60, 0x41, v60
	s_waitcnt lgkmcnt(4)
	v_lshrrev_b32_e32 v131, 16, v36
	s_waitcnt lgkmcnt(3)
	v_lshrrev_b32_e32 v132, 16, v65
	v_sub_nc_u16 v89, v47, v64
	v_sub_nc_u16 v112, v59, v63
	;; [unrolled: 1-line block ×4, first 2 shown]
	v_lshrrev_b32_e32 v124, 16, v28
	v_lshlrev_b16 v48, 3, v89
	v_lshlrev_b16 v59, 3, v112
	v_and_b32_e32 v114, 0xff, v47
	v_lshlrev_b16 v60, 3, v113
	v_lshrrev_b32_e32 v127, 16, v29
	v_and_b32_e32 v47, 0xffff, v48
	v_and_b32_e32 v59, 0xffff, v59
	v_lshrrev_b32_e32 v134, 16, v37
	v_and_b32_e32 v115, 0xffff, v60
	v_lshlrev_b32_e32 v60, 3, v114
	v_add_co_u32 v47, s1, s2, v47
	v_add_co_ci_u32_e64 v48, null, s3, 0, s1
	global_load_dwordx2 v[63:64], v60, s[2:3] offset:208
	v_add_co_u32 v59, s1, s2, v59
	global_load_dwordx2 v[61:62], v[47:48], off offset:208
	v_add_co_ci_u32_e64 v60, null, s3, 0, s1
	v_add_co_u32 v47, s1, s2, v115
	v_add_co_ci_u32_e64 v48, null, s3, 0, s1
	s_clause 0x1
	global_load_dwordx2 v[59:60], v[59:60], off offset:208
	global_load_dwordx2 v[47:48], v[47:48], off offset:208
	v_mov_b32_e32 v115, 0xc3
	v_lshrrev_b32_e32 v135, 16, v66
	s_waitcnt lgkmcnt(1)
	v_lshrrev_b32_e32 v137, 16, v34
	s_waitcnt lgkmcnt(0)
	v_lshrrev_b32_e32 v138, 16, v38
	v_lshrrev_b32_e32 v140, 16, v35
	v_mul_u32_u24_sdwa v45, v45, v115 dst_sel:DWORD dst_unused:UNUSED_PAD src0_sel:WORD_0 src1_sel:DWORD
	v_lshl_add_u32 v115, v87, 2, v104
	v_lshrrev_b32_e32 v141, 16, v39
	v_lshrrev_b32_e32 v130, 16, v24
	v_cmp_lt_u16_e64 s1, 25, v44
	v_add_nc_u32_sdwa v45, v45, v86 dst_sel:DWORD dst_unused:UNUSED_PAD src0_sel:DWORD src1_sel:BYTE_0
	v_mad_u16 v86, 0xc3, v88, v89
	v_and_b32_e32 v88, 0xffff, v112
	v_lshrrev_b32_e32 v133, 16, v25
	v_cndmask_b32_e64 v116, 0, 0xc3, s1
	s_waitcnt vmcnt(0)
	s_barrier
	v_lshl_add_u32 v112, v88, 2, v104
	buffer_gl0_inv
	v_add_nc_u32_e32 v85, v85, v116
	v_lshrrev_b32_e32 v136, 16, v26
	v_lshrrev_b32_e32 v139, 16, v27
	v_lshl_add_u32 v116, v45, 2, v104
	v_lshl_add_u32 v114, v114, 2, v104
	;; [unrolled: 1-line block ×3, first 2 shown]
	v_and_b32_e32 v85, 0xffff, v86
	v_add_nc_u32_e32 v86, 0x400, v115
	v_and_b32_e32 v45, 0xffff, v113
	v_add_nc_u32_e32 v143, 0x800, v114
	v_lshl_add_u32 v113, v85, 2, v104
	v_add_nc_u32_e32 v85, 0xc00, v112
	v_mul_f16_sdwa v87, v119, v55 dst_sel:DWORD dst_unused:UNUSED_PAD src0_sel:DWORD src1_sel:WORD_1
	v_mul_f16_sdwa v88, v67, v55 dst_sel:DWORD dst_unused:UNUSED_PAD src0_sel:DWORD src1_sel:WORD_1
	;; [unrolled: 1-line block ×4, first 2 shown]
	v_fma_f16 v67, v67, v55, -v87
	v_fmac_f16_e32 v88, v119, v55
	v_fma_f16 v69, v69, v56, -v89
	v_fmac_f16_e32 v142, v120, v56
	v_mul_f16_sdwa v87, v122, v51 dst_sel:DWORD dst_unused:UNUSED_PAD src0_sel:DWORD src1_sel:WORD_1
	v_mul_f16_sdwa v89, v68, v51 dst_sel:DWORD dst_unused:UNUSED_PAD src0_sel:DWORD src1_sel:WORD_1
	;; [unrolled: 1-line block ×4, first 2 shown]
	v_add_f16_e32 v145, v67, v69
	v_sub_f16_e32 v146, v88, v142
	v_add_f16_e32 v147, v118, v88
	v_add_f16_e32 v88, v88, v142
	;; [unrolled: 1-line block ×3, first 2 shown]
	v_sub_f16_e32 v67, v67, v69
	v_mul_f16_sdwa v148, v125, v53 dst_sel:DWORD dst_unused:UNUSED_PAD src0_sel:DWORD src1_sel:WORD_1
	v_mul_f16_sdwa v149, v73, v53 dst_sel:DWORD dst_unused:UNUSED_PAD src0_sel:DWORD src1_sel:WORD_1
	;; [unrolled: 1-line block ×8, first 2 shown]
	v_fma_f16 v68, v68, v51, -v87
	v_fmac_f16_e32 v89, v122, v51
	v_fma_f16 v70, v70, v52, -v119
	v_fmac_f16_e32 v120, v123, v52
	v_fma_f16 v30, -0.5, v145, v30
	v_fmac_f16_e32 v118, -0.5, v88
	v_add_f16_e32 v69, v144, v69
	v_add_f16_e32 v87, v147, v142
	v_fma_f16 v73, v73, v53, -v148
	v_fmac_f16_e32 v149, v125, v53
	v_fma_f16 v71, v71, v54, -v150
	v_fmac_f16_e32 v151, v126, v54
	;; [unrolled: 2-line block ×4, first 2 shown]
	v_mul_f16_sdwa v88, v131, v57 dst_sel:DWORD dst_unused:UNUSED_PAD src0_sel:DWORD src1_sel:WORD_1
	v_mul_f16_sdwa v119, v36, v57 dst_sel:DWORD dst_unused:UNUSED_PAD src0_sel:DWORD src1_sel:WORD_1
	;; [unrolled: 1-line block ×4, first 2 shown]
	v_fmamk_f16 v125, v146, 0x3aee, v30
	v_fmamk_f16 v126, v67, 0xbaee, v118
	v_fmac_f16_e32 v118, 0x3aee, v67
	v_add_f16_e32 v67, v31, v68
	v_add_f16_e32 v128, v68, v70
	v_sub_f16_e32 v129, v89, v120
	v_add_f16_e32 v142, v121, v89
	v_add_f16_e32 v89, v89, v120
	v_fmac_f16_e32 v30, 0xbaee, v146
	v_sub_f16_e32 v68, v68, v70
	v_pack_b32_f16 v69, v69, v87
	v_fma_f16 v87, v36, v57, -v88
	v_fmac_f16_e32 v119, v131, v57
	v_fma_f16 v65, v65, v58, -v122
	v_fmac_f16_e32 v123, v132, v58
	v_add_f16_e32 v88, v28, v73
	v_add_f16_e32 v122, v73, v71
	v_add_f16_e32 v132, v124, v149
	v_add_f16_e32 v144, v149, v151
	v_add_f16_e32 v145, v29, v74
	v_add_f16_e32 v146, v74, v72
	v_add_f16_e32 v148, v127, v153
	v_add_f16_e32 v67, v67, v70
	v_fmac_f16_e32 v31, -0.5, v128
	v_add_f16_e32 v70, v142, v120
	v_fmac_f16_e32 v121, -0.5, v89
	v_pack_b32_f16 v89, v125, v126
	v_mul_f16_sdwa v120, v134, v63 dst_sel:DWORD dst_unused:UNUSED_PAD src0_sel:DWORD src1_sel:WORD_1
	v_mul_f16_sdwa v125, v37, v63 dst_sel:DWORD dst_unused:UNUSED_PAD src0_sel:DWORD src1_sel:WORD_1
	;; [unrolled: 1-line block ×4, first 2 shown]
	v_sub_f16_e32 v131, v149, v151
	v_sub_f16_e32 v147, v153, v155
	v_add_f16_e32 v149, v153, v155
	v_mul_f16_sdwa v142, v137, v61 dst_sel:DWORD dst_unused:UNUSED_PAD src0_sel:DWORD src1_sel:WORD_1
	v_mul_f16_sdwa v150, v34, v61 dst_sel:DWORD dst_unused:UNUSED_PAD src0_sel:DWORD src1_sel:WORD_1
	;; [unrolled: 1-line block ×8, first 2 shown]
	v_sub_f16_e32 v73, v73, v71
	v_sub_f16_e32 v74, v74, v72
	v_pack_b32_f16 v118, v30, v118
	v_mul_f16_sdwa v159, v76, v47 dst_sel:DWORD dst_unused:UNUSED_PAD src0_sel:DWORD src1_sel:WORD_1
	v_mul_f16_sdwa v36, v75, v47 dst_sel:DWORD dst_unused:UNUSED_PAD src0_sel:DWORD src1_sel:WORD_1
	v_mul_f16_sdwa v160, v84, v48 dst_sel:DWORD dst_unused:UNUSED_PAD src0_sel:DWORD src1_sel:WORD_1
	v_mul_f16_sdwa v30, v83, v48 dst_sel:DWORD dst_unused:UNUSED_PAD src0_sel:DWORD src1_sel:WORD_1
	v_add_f16_e32 v71, v88, v71
	v_fma_f16 v88, -0.5, v122, v28
	v_add_f16_e32 v122, v132, v151
	v_fmac_f16_e32 v124, -0.5, v144
	v_add_f16_e32 v72, v145, v72
	v_fmac_f16_e32 v29, -0.5, v146
	v_add_f16_e32 v132, v148, v155
	v_add_f16_e32 v145, v87, v65
	v_sub_f16_e32 v146, v119, v123
	v_add_f16_e32 v148, v130, v119
	v_add_f16_e32 v119, v119, v123
	v_fma_f16 v37, v37, v63, -v120
	v_fmac_f16_e32 v125, v134, v63
	v_fma_f16 v66, v66, v64, -v126
	v_fmac_f16_e32 v128, v135, v64
	v_fmac_f16_e32 v127, -0.5, v149
	v_fmamk_f16 v149, v129, 0x3aee, v31
	v_fmac_f16_e32 v31, 0xbaee, v129
	v_fmamk_f16 v129, v68, 0xbaee, v121
	v_fmac_f16_e32 v121, 0x3aee, v68
	v_fma_f16 v68, v34, v61, -v142
	v_fmac_f16_e32 v150, v137, v61
	v_fma_f16 v38, v38, v62, -v152
	;; [unrolled: 2-line block ×4, first 2 shown]
	v_fmac_f16_e32 v158, v141, v60
	v_add_f16_e32 v144, v24, v87
	v_sub_f16_e32 v87, v87, v65
	ds_write2_b32 v90, v69, v89 offset1:65
	ds_write_b32 v90, v118 offset:520
	v_pack_b32_f16 v67, v67, v70
	v_fma_f16 v34, v75, v47, -v159
	v_fmac_f16_e32 v36, v76, v47
	v_fma_f16 v28, v83, v48, -v160
	v_fmac_f16_e32 v30, v84, v48
	v_fmamk_f16 v69, v131, 0x3aee, v88
	v_fmamk_f16 v70, v73, 0xbaee, v124
	v_fma_f16 v24, -0.5, v145, v24
	v_fmac_f16_e32 v130, -0.5, v119
	v_add_f16_e32 v89, v37, v66
	v_add_f16_e32 v119, v125, v128
	v_fmac_f16_e32 v88, 0xbaee, v131
	v_fmac_f16_e32 v124, 0x3aee, v73
	v_fmamk_f16 v73, v147, 0x3aee, v29
	v_fmamk_f16 v75, v74, 0xbaee, v127
	v_pack_b32_f16 v71, v71, v122
	v_add_f16_e32 v122, v68, v38
	v_add_f16_e32 v126, v150, v153
	v_fmac_f16_e32 v29, 0xbaee, v147
	v_fmac_f16_e32 v127, 0x3aee, v74
	v_add_f16_e32 v131, v35, v39
	v_add_f16_e32 v135, v156, v158
	;; [unrolled: 1-line block ×4, first 2 shown]
	v_pack_b32_f16 v76, v149, v129
	v_fmamk_f16 v83, v146, 0x3aee, v24
	v_fmamk_f16 v84, v87, 0xbaee, v130
	v_fmac_f16_e32 v130, 0x3aee, v87
	v_add_f16_e32 v87, v25, v37
	v_sub_f16_e32 v120, v125, v128
	v_add_f16_e32 v118, v133, v125
	v_sub_f16_e32 v37, v37, v66
	v_add_f16_e32 v137, v34, v28
	v_add_f16_e32 v140, v36, v30
	v_pack_b32_f16 v69, v69, v70
	v_fmac_f16_e32 v25, -0.5, v89
	v_fmac_f16_e32 v133, -0.5, v119
	v_pack_b32_f16 v31, v31, v121
	v_fmac_f16_e32 v24, 0xbaee, v146
	v_pack_b32_f16 v70, v88, v124
	v_pack_b32_f16 v72, v72, v132
	v_add_f16_e32 v121, v26, v68
	v_sub_f16_e32 v123, v150, v153
	v_add_f16_e32 v125, v136, v150
	v_sub_f16_e32 v68, v68, v38
	v_pack_b32_f16 v73, v73, v75
	v_fma_f16 v26, -0.5, v122, v26
	v_fmac_f16_e32 v136, -0.5, v126
	v_pack_b32_f16 v29, v29, v127
	v_add_f16_e32 v129, v27, v35
	v_sub_f16_e32 v132, v156, v158
	v_add_f16_e32 v134, v139, v156
	v_sub_f16_e32 v35, v35, v39
	v_fmac_f16_e32 v27, -0.5, v131
	v_fmac_f16_e32 v139, -0.5, v135
	v_sub_f16_e32 v138, v36, v30
	v_sub_f16_e32 v141, v34, v28
	v_pack_b32_f16 v65, v65, v74
	ds_write2_b32 v117, v67, v76 offset1:65
	ds_write_b32 v117, v31 offset:520
	v_add_f16_e32 v31, v87, v66
	v_add_f16_e32 v67, v118, v128
	v_fma_f16 v118, -0.5, v137, v81
	v_fma_f16 v119, -0.5, v140, v82
	ds_write2_b32 v80, v71, v69 offset0:80 offset1:145
	ds_write_b32 v90, v70 offset:1352
	ds_write2_b32 v116, v72, v73 offset1:65
	ds_write_b32 v116, v29 offset:520
	v_pack_b32_f16 v29, v83, v84
	v_fmamk_f16 v69, v120, 0x3aee, v25
	v_fmamk_f16 v70, v37, 0xbaee, v133
	v_pack_b32_f16 v24, v24, v130
	v_fmac_f16_e32 v25, 0xbaee, v120
	v_fmac_f16_e32 v133, 0x3aee, v37
	v_add_f16_e32 v38, v121, v38
	v_add_f16_e32 v74, v125, v153
	v_fmamk_f16 v37, v123, 0x3aee, v26
	v_fmamk_f16 v71, v68, 0xbaee, v136
	v_fmac_f16_e32 v26, 0xbaee, v123
	v_fmac_f16_e32 v136, 0x3aee, v68
	v_add_f16_e32 v39, v129, v39
	v_add_f16_e32 v75, v134, v158
	v_fmamk_f16 v68, v132, 0x3aee, v27
	v_fmamk_f16 v72, v35, 0xbaee, v139
	v_fmac_f16_e32 v27, 0xbaee, v132
	v_fmac_f16_e32 v139, 0x3aee, v35
	v_fmamk_f16 v66, v138, 0x3aee, v118
	v_fmac_f16_e32 v118, 0xbaee, v138
	v_fmamk_f16 v121, v141, 0xbaee, v119
	v_fmac_f16_e32 v119, 0x3aee, v141
	ds_write2_b32 v86, v65, v29 offset0:134 offset1:199
	ds_write_b32 v115, v24 offset:2080
	v_pack_b32_f16 v24, v31, v67
	v_pack_b32_f16 v35, v69, v70
	;; [unrolled: 1-line block ×9, first 2 shown]
	ds_write2_b32 v143, v24, v35 offset0:73 offset1:138
	ds_write_b32 v114, v25 offset:2860
	ds_write2_b32 v113, v29, v37 offset1:65
	ds_write_b32 v113, v26 offset:520
	ds_write2_b32 v85, v31, v38 offset0:12 offset1:77
	ds_write_b32 v112, v27 offset:3640
	s_and_saveexec_b32 s1, s0
	s_cbranch_execz .LBB0_11
; %bb.10:
	v_add_f16_e32 v24, v82, v36
	v_add_f16_e32 v25, v81, v34
	v_lshl_add_u32 v26, v45, 2, v104
	v_perm_b32 v27, v121, v66, 0x5040100
	v_add_f16_e32 v24, v24, v30
	v_add_f16_e32 v25, v25, v28
	v_add_nc_u32_e32 v28, 0xc00, v26
	v_pack_b32_f16 v24, v25, v24
	v_perm_b32 v25, v119, v118, 0x5040100
	ds_write2_b32 v28, v24, v27 offset0:12 offset1:77
	ds_write_b32 v26, v25 offset:3640
.LBB0_11:
	s_or_b32 exec_lo, exec_lo, s1
	v_lshlrev_b64 v[20:21], 4, v[20:21]
	v_lshlrev_b64 v[22:23], 4, v[22:23]
	v_lshlrev_b32_e32 v24, 4, v44
	v_lshlrev_b32_e32 v28, 4, v77
	s_waitcnt lgkmcnt(0)
	s_barrier
	v_add_co_u32 v20, s1, s2, v20
	v_add_co_ci_u32_e64 v21, s1, s3, v21, s1
	buffer_gl0_inv
	s_clause 0x2
	global_load_dwordx4 v[24:27], v24, s[2:3] offset:728
	global_load_dwordx4 v[28:31], v28, s[2:3] offset:728
	global_load_dwordx4 v[36:39], v[20:21], off offset:728
	v_lshlrev_b64 v[20:21], 4, v[32:33]
	v_add_co_u32 v22, s1, s2, v22
	v_add_co_ci_u32_e64 v23, s1, s3, v23, s1
	v_add_nc_u32_e32 v80, 0x400, v90
	v_add_co_u32 v20, s1, s2, v20
	v_add_co_ci_u32_e64 v21, s1, s3, v21, s1
	global_load_dwordx4 v[32:35], v[22:23], off offset:728
	v_add_nc_u32_e32 v84, 0x800, v90
	v_add_nc_u32_e32 v81, 0xc00, v90
	global_load_dwordx4 v[20:23], v[20:21], off offset:728
	ds_read2_b32 v[76:77], v90 offset1:39
	ds_read2_b32 v[67:68], v90 offset0:156 offset1:195
	v_add_nc_u32_e32 v82, 0x200, v90
	ds_read2_b32 v[69:70], v90 offset0:78 offset1:117
	ds_read_b32 v65, v90 offset:3744
	ds_read2_b32 v[71:72], v80 offset0:134 offset1:173
	ds_read2_b32 v[73:74], v84 offset0:34 offset1:73
	;; [unrolled: 1-line block ×9, first 2 shown]
	s_waitcnt lgkmcnt(9)
	v_lshrrev_b32_e32 v120, 16, v65
	s_waitcnt lgkmcnt(8)
	v_lshrrev_b32_e32 v88, 16, v71
	s_waitcnt lgkmcnt(7)
	v_lshrrev_b32_e32 v89, 16, v74
	s_waitcnt lgkmcnt(6)
	v_lshrrev_b32_e32 v123, 16, v86
	s_waitcnt lgkmcnt(5)
	v_lshrrev_b32_e32 v138, 16, v126
	s_waitcnt lgkmcnt(4)
	v_lshrrev_b32_e32 v140, 16, v128
	v_lshrrev_b32_e32 v75, 16, v68
	v_lshrrev_b32_e32 v139, 16, v72
	;; [unrolled: 1-line block ×4, first 2 shown]
	s_waitcnt lgkmcnt(3)
	v_lshrrev_b32_e32 v143, 16, v130
	v_lshrrev_b32_e32 v144, 16, v129
	s_waitcnt lgkmcnt(2)
	v_lshrrev_b32_e32 v145, 16, v132
	s_waitcnt lgkmcnt(1)
	v_lshrrev_b32_e32 v146, 16, v134
	s_waitcnt lgkmcnt(0)
	v_lshrrev_b32_e32 v148, 16, v136
	v_lshrrev_b32_e32 v151, 16, v73
	;; [unrolled: 1-line block ×11, first 2 shown]
	s_waitcnt vmcnt(4)
	v_mul_f16_sdwa v153, v75, v24 dst_sel:DWORD dst_unused:UNUSED_PAD src0_sel:DWORD src1_sel:WORD_1
	v_mul_f16_sdwa v155, v88, v25 dst_sel:DWORD dst_unused:UNUSED_PAD src0_sel:DWORD src1_sel:WORD_1
	;; [unrolled: 1-line block ×4, first 2 shown]
	s_waitcnt vmcnt(3)
	v_mul_f16_sdwa v161, v138, v28 dst_sel:DWORD dst_unused:UNUSED_PAD src0_sel:DWORD src1_sel:WORD_1
	v_mul_f16_sdwa v165, v140, v30 dst_sel:DWORD dst_unused:UNUSED_PAD src0_sel:DWORD src1_sel:WORD_1
	;; [unrolled: 1-line block ×12, first 2 shown]
	v_fma_f16 v68, v68, v24, -v153
	v_fma_f16 v71, v71, v25, -v155
	;; [unrolled: 1-line block ×3, first 2 shown]
	v_fmac_f16_e32 v160, v123, v27
	v_fma_f16 v123, v126, v28, -v161
	v_fma_f16 v126, v128, v30, -v165
	s_waitcnt vmcnt(2)
	v_mul_f16_sdwa v128, v142, v36 dst_sel:DWORD dst_unused:UNUSED_PAD src0_sel:DWORD src1_sel:WORD_1
	v_fmac_f16_e32 v154, v75, v24
	v_fmac_f16_e32 v156, v88, v25
	v_fmac_f16_e32 v158, v89, v26
	v_fma_f16 v75, v86, v27, -v159
	v_fmac_f16_e32 v162, v138, v28
	v_fma_f16 v72, v72, v29, -v163
	v_fmac_f16_e32 v164, v139, v29
	v_fmac_f16_e32 v166, v140, v30
	v_fma_f16 v138, v87, v31, -v167
	v_fmac_f16_e32 v168, v141, v31
	v_mul_f16_sdwa v139, v127, v36 dst_sel:DWORD dst_unused:UNUSED_PAD src0_sel:DWORD src1_sel:WORD_1
	v_mul_f16_sdwa v140, v143, v37 dst_sel:DWORD dst_unused:UNUSED_PAD src0_sel:DWORD src1_sel:WORD_1
	;; [unrolled: 1-line block ×7, first 2 shown]
	s_waitcnt vmcnt(1)
	v_mul_f16_sdwa v161, v146, v32 dst_sel:DWORD dst_unused:UNUSED_PAD src0_sel:DWORD src1_sel:WORD_1
	v_mul_f16_sdwa v163, v134, v32 dst_sel:DWORD dst_unused:UNUSED_PAD src0_sel:DWORD src1_sel:WORD_1
	;; [unrolled: 1-line block ×3, first 2 shown]
	s_waitcnt vmcnt(0)
	v_mul_f16_sdwa v174, v151, v21 dst_sel:DWORD dst_unused:UNUSED_PAD src0_sel:DWORD src1_sel:WORD_1
	v_mul_f16_sdwa v176, v120, v23 dst_sel:DWORD dst_unused:UNUSED_PAD src0_sel:DWORD src1_sel:WORD_1
	;; [unrolled: 1-line block ×3, first 2 shown]
	v_add_f16_e32 v177, v76, v68
	v_add_f16_e32 v178, v71, v74
	v_fma_f16 v127, v127, v36, -v128
	v_mul_f16_sdwa v165, v147, v33 dst_sel:DWORD dst_unused:UNUSED_PAD src0_sel:DWORD src1_sel:WORD_1
	v_mul_f16_sdwa v167, v131, v33 dst_sel:DWORD dst_unused:UNUSED_PAD src0_sel:DWORD src1_sel:WORD_1
	;; [unrolled: 1-line block ×7, first 2 shown]
	v_sub_f16_e32 v179, v154, v160
	v_sub_f16_e32 v181, v68, v71
	v_add_f16_e32 v183, v68, v75
	v_sub_f16_e32 v184, v71, v68
	v_add_f16_e32 v186, v85, v154
	v_add_f16_e32 v187, v156, v158
	v_sub_f16_e32 v188, v68, v75
	v_sub_f16_e32 v68, v154, v156
	;; [unrolled: 1-line block ×3, first 2 shown]
	v_add_f16_e32 v191, v154, v160
	v_add_f16_e32 v193, v77, v123
	v_sub_f16_e32 v195, v162, v168
	v_sub_f16_e32 v200, v72, v123
	;; [unrolled: 1-line block ×3, first 2 shown]
	v_add_f16_e32 v202, v83, v162
	v_sub_f16_e32 v205, v162, v164
	v_add_f16_e32 v207, v162, v168
	v_sub_f16_e32 v162, v164, v162
	v_sub_f16_e32 v208, v166, v168
	v_fmac_f16_e32 v139, v142, v36
	v_fma_f16 v128, v130, v37, -v140
	v_fmac_f16_e32 v141, v143, v37
	v_fma_f16 v129, v129, v38, -v153
	;; [unrolled: 2-line block ×5, first 2 shown]
	v_fma_f16 v136, v73, v21, -v174
	v_fma_f16 v140, v65, v23, -v176
	v_fmac_f16_e32 v87, v120, v23
	v_add_f16_e32 v65, v177, v71
	v_fma_f16 v120, -0.5, v178, v76
	v_add_f16_e32 v73, v69, v127
	v_mul_f16_sdwa v173, v150, v20 dst_sel:DWORD dst_unused:UNUSED_PAD src0_sel:DWORD src1_sel:WORD_1
	v_mul_f16_sdwa v86, v135, v20 dst_sel:DWORD dst_unused:UNUSED_PAD src0_sel:DWORD src1_sel:WORD_1
	;; [unrolled: 1-line block ×3, first 2 shown]
	v_sub_f16_e32 v180, v156, v158
	v_sub_f16_e32 v182, v75, v74
	;; [unrolled: 1-line block ×6, first 2 shown]
	v_add_f16_e32 v194, v72, v126
	v_sub_f16_e32 v196, v164, v166
	v_sub_f16_e32 v197, v123, v72
	;; [unrolled: 1-line block ×3, first 2 shown]
	v_add_f16_e32 v203, v164, v166
	v_sub_f16_e32 v204, v72, v126
	v_fma_f16 v131, v131, v33, -v165
	v_fmac_f16_e32 v167, v147, v33
	v_fmac_f16_e32 v170, v148, v34
	v_fma_f16 v133, v133, v35, -v171
	v_fmac_f16_e32 v172, v149, v35
	v_fmac_f16_e32 v89, v152, v22
	v_add_f16_e32 v71, v186, v156
	v_fma_f16 v144, -0.5, v187, v85
	v_add_f16_e32 v145, v68, v190
	v_fmac_f16_e32 v85, -0.5, v191
	v_add_f16_e32 v68, v193, v72
	v_add_f16_e32 v149, v200, v201
	;; [unrolled: 1-line block ×5, first 2 shown]
	v_sub_f16_e32 v157, v127, v128
	v_sub_f16_e32 v161, v132, v129
	v_add_f16_e32 v162, v127, v132
	v_sub_f16_e32 v164, v128, v127
	v_sub_f16_e32 v165, v129, v132
	v_add_f16_e32 v169, v122, v139
	v_add_f16_e32 v171, v141, v155
	;; [unrolled: 1-line block ×6, first 2 shown]
	v_fmamk_f16 v200, v179, 0x3b9c, v120
	v_fmac_f16_e32 v120, 0xbb9c, v179
	v_add_f16_e32 v73, v73, v128
	v_fma_f16 v135, v135, v20, -v173
	v_fmac_f16_e32 v86, v150, v20
	v_fma_f16 v137, v137, v22, -v175
	v_add_f16_e32 v142, v181, v182
	v_fma_f16 v143, -0.5, v183, v76
	v_add_f16_e32 v76, v184, v185
	v_add_f16_e32 v146, v154, v192
	v_fma_f16 v147, -0.5, v194, v77
	v_add_f16_e32 v148, v197, v198
	v_fma_f16 v150, -0.5, v203, v83
	v_sub_f16_e32 v173, v127, v132
	v_sub_f16_e32 v174, v128, v129
	v_add_f16_e32 v181, v131, v134
	v_sub_f16_e32 v182, v163, v172
	v_sub_f16_e32 v183, v167, v170
	;; [unrolled: 1-line block ×3, first 2 shown]
	v_add_f16_e32 v186, v130, v133
	v_sub_f16_e32 v187, v131, v130
	v_add_f16_e32 v192, v167, v170
	v_sub_f16_e32 v193, v130, v133
	v_sub_f16_e32 v194, v131, v134
	;; [unrolled: 1-line block ×3, first 2 shown]
	v_add_f16_e32 v198, v163, v172
	v_sub_f16_e32 v163, v167, v163
	v_add_f16_e32 v74, v71, v158
	v_fmamk_f16 v158, v188, 0xbb9c, v144
	v_fmac_f16_e32 v144, 0x3b9c, v188
	v_add_f16_e32 v203, v68, v126
	v_fma_f16 v68, -0.5, v153, v69
	v_add_f16_e32 v153, v157, v161
	v_fma_f16 v126, -0.5, v162, v69
	v_add_f16_e32 v157, v164, v165
	v_add_f16_e32 v69, v169, v141
	v_fma_f16 v128, -0.5, v171, v122
	v_fmac_f16_e32 v122, -0.5, v176
	v_add_f16_e32 v131, v178, v131
	v_add_f16_e32 v164, v191, v167
	;; [unrolled: 1-line block ×3, first 2 shown]
	v_fmac_f16_e32 v200, 0x38b4, v180
	v_fmac_f16_e32 v120, 0xb8b4, v180
	v_add_f16_e32 v65, v73, v129
	v_sub_f16_e32 v154, v139, v159
	v_sub_f16_e32 v156, v141, v155
	;; [unrolled: 1-line block ×6, first 2 shown]
	v_fmamk_f16 v201, v180, 0xbb9c, v143
	v_fmac_f16_e32 v143, 0x3b9c, v180
	v_add_f16_e32 v160, v74, v160
	v_fmac_f16_e32 v158, 0xb8b4, v189
	v_fmac_f16_e32 v144, 0x38b4, v189
	v_add_f16_e32 v69, v69, v155
	v_fmamk_f16 v155, v173, 0xbb9c, v128
	v_fmac_f16_e32 v128, 0x3b9c, v173
	v_fmamk_f16 v171, v174, 0x3b9c, v122
	v_fmac_f16_e32 v122, 0xbb9c, v174
	v_add_f16_e32 v74, v131, v134
	v_add_f16_e32 v75, v164, v170
	v_fmac_f16_e32 v200, 0x34f2, v142
	v_fmac_f16_e32 v120, 0x34f2, v142
	v_add_f16_e32 v142, v65, v132
	v_add_f16_e32 v65, v136, v137
	;; [unrolled: 1-line block ×3, first 2 shown]
	v_fmac_f16_e32 v88, v151, v21
	v_sub_f16_e32 v185, v133, v134
	v_sub_f16_e32 v190, v134, v133
	v_add_f16_e32 v141, v127, v175
	v_add_f16_e32 v139, v139, v177
	v_fma_f16 v127, -0.5, v192, v125
	v_fmac_f16_e32 v125, -0.5, v198
	v_fmac_f16_e32 v201, 0x38b4, v179
	v_fmac_f16_e32 v143, 0xb8b4, v179
	;; [unrolled: 1-line block ×4, first 2 shown]
	v_add_f16_e32 v145, v69, v159
	v_fmac_f16_e32 v155, 0xb8b4, v174
	v_fmac_f16_e32 v128, 0x38b4, v174
	v_fmac_f16_e32 v171, 0xb8b4, v173
	v_fmac_f16_e32 v122, 0x38b4, v173
	v_add_f16_e32 v69, v74, v133
	v_add_f16_e32 v131, v75, v172
	;; [unrolled: 1-line block ×3, first 2 shown]
	v_fma_f16 v65, -0.5, v65, v67
	v_sub_f16_e32 v133, v86, v87
	v_fmac_f16_e32 v77, -0.5, v199
	v_sub_f16_e32 v199, v170, v172
	v_fmamk_f16 v202, v189, 0x3b9c, v85
	v_fmac_f16_e32 v85, 0xbb9c, v189
	v_fmamk_f16 v129, v194, 0x3b9c, v125
	v_fmac_f16_e32 v201, 0x34f2, v76
	v_fmac_f16_e32 v143, 0x34f2, v76
	;; [unrolled: 1-line block ×7, first 2 shown]
	v_add_f16_e32 v76, v75, v136
	v_fmamk_f16 v75, v133, 0x3b9c, v65
	v_sub_f16_e32 v132, v88, v89
	v_sub_f16_e32 v134, v135, v136
	;; [unrolled: 1-line block ×3, first 2 shown]
	v_fmac_f16_e32 v65, 0xbb9c, v133
	v_add_f16_e32 v141, v135, v140
	v_fmac_f16_e32 v202, 0xb8b4, v188
	v_fmac_f16_e32 v85, 0x38b4, v188
	;; [unrolled: 1-line block ×3, first 2 shown]
	v_add_f16_e32 v74, v163, v199
	v_fmac_f16_e32 v125, 0x38b4, v193
	v_add_f16_e32 v76, v76, v137
	v_fmac_f16_e32 v75, 0x38b4, v132
	;; [unrolled: 2-line block ×3, first 2 shown]
	v_fmac_f16_e32 v67, -0.5, v141
	v_fmac_f16_e32 v202, 0x34f2, v146
	v_fmac_f16_e32 v85, 0x34f2, v146
	;; [unrolled: 1-line block ×4, first 2 shown]
	v_add_f16_e32 v74, v76, v140
	v_fmac_f16_e32 v75, 0x34f2, v134
	v_fmac_f16_e32 v65, 0x34f2, v134
	v_fmamk_f16 v76, v132, 0xbb9c, v67
	v_add_f16_e32 v134, v88, v89
	v_sub_f16_e32 v139, v136, v135
	v_sub_f16_e32 v141, v137, v140
	v_fmac_f16_e32 v67, 0x3b9c, v132
	v_add_f16_e32 v146, v124, v86
	v_sub_f16_e32 v135, v135, v140
	v_add_f16_e32 v140, v86, v87
	v_fma_f16 v132, -0.5, v134, v124
	v_fmac_f16_e32 v76, 0x38b4, v133
	v_add_f16_e32 v134, v139, v141
	v_fmac_f16_e32 v67, 0xb8b4, v133
	v_add_f16_e32 v139, v146, v88
	v_sub_f16_e32 v136, v136, v137
	v_fmac_f16_e32 v124, -0.5, v140
	v_sub_f16_e32 v123, v123, v138
	v_sub_f16_e32 v206, v168, v166
	v_fmac_f16_e32 v83, -0.5, v207
	v_fma_f16 v71, -0.5, v181, v70
	v_fmac_f16_e32 v70, -0.5, v186
	v_fmac_f16_e32 v76, 0x34f2, v134
	v_fmac_f16_e32 v67, 0x34f2, v134
	v_add_f16_e32 v137, v139, v89
	v_sub_f16_e32 v139, v86, v88
	v_fmamk_f16 v134, v136, 0x3b9c, v124
	v_sub_f16_e32 v86, v88, v86
	v_sub_f16_e32 v88, v89, v87
	v_fmac_f16_e32 v124, 0xbb9c, v136
	v_add_f16_e32 v151, v205, v206
	v_sub_f16_e32 v197, v172, v170
	v_fmamk_f16 v205, v195, 0x3b9c, v147
	v_add_f16_e32 v72, v72, v166
	v_fmamk_f16 v166, v123, 0xbb9c, v150
	v_fmamk_f16 v207, v204, 0x3b9c, v83
	v_fmac_f16_e32 v83, 0xbb9c, v204
	v_fmamk_f16 v206, v196, 0xbb9c, v77
	v_fmac_f16_e32 v77, 0x3b9c, v196
	v_fmac_f16_e32 v147, 0xbb9c, v195
	;; [unrolled: 1-line block ×3, first 2 shown]
	v_fmamk_f16 v169, v156, 0xbb9c, v126
	v_fmac_f16_e32 v126, 0x3b9c, v156
	v_fmamk_f16 v73, v183, 0xbb9c, v70
	v_fmac_f16_e32 v70, 0x3b9c, v183
	v_fmamk_f16 v133, v135, 0xbb9c, v132
	v_sub_f16_e32 v140, v87, v89
	v_fmac_f16_e32 v132, 0x3b9c, v135
	v_fmac_f16_e32 v134, 0xb8b4, v135
	v_add_f16_e32 v86, v86, v88
	v_fmac_f16_e32 v124, 0x38b4, v135
	v_add_f16_e32 v165, v130, v197
	;; [unrolled: 2-line block ×3, first 2 shown]
	v_fmac_f16_e32 v166, 0xb8b4, v204
	v_fmac_f16_e32 v207, 0xb8b4, v123
	;; [unrolled: 1-line block ×3, first 2 shown]
	v_fmamk_f16 v123, v154, 0x3b9c, v68
	v_fmamk_f16 v72, v182, 0x3b9c, v71
	;; [unrolled: 1-line block ×3, first 2 shown]
	v_fmac_f16_e32 v206, 0x38b4, v195
	v_fmac_f16_e32 v77, 0xb8b4, v195
	;; [unrolled: 1-line block ×4, first 2 shown]
	v_add_f16_e32 v162, v187, v190
	v_add_f16_e32 v138, v203, v138
	v_fmac_f16_e32 v126, 0xb8b4, v154
	v_fmac_f16_e32 v70, 0xb8b4, v182
	;; [unrolled: 1-line block ×3, first 2 shown]
	v_add_f16_e32 v89, v139, v140
	v_fmac_f16_e32 v132, 0x38b4, v136
	v_fmac_f16_e32 v134, 0x34f2, v86
	;; [unrolled: 1-line block ×3, first 2 shown]
	v_pack_b32_f16 v86, v200, v158
	v_add_f16_e32 v161, v184, v185
	v_fmac_f16_e32 v205, 0x34f2, v148
	v_fmac_f16_e32 v166, 0x34f2, v151
	;; [unrolled: 1-line block ×5, first 2 shown]
	v_add_f16_e32 v135, v137, v87
	v_pack_b32_f16 v87, v201, v202
	v_fmac_f16_e32 v206, 0x34f2, v149
	v_fmac_f16_e32 v207, 0x34f2, v152
	v_pack_b32_f16 v85, v143, v85
	v_fmac_f16_e32 v68, 0xbb9c, v154
	v_fmac_f16_e32 v77, 0x34f2, v149
	v_fmac_f16_e32 v83, 0x34f2, v152
	v_pack_b32_f16 v88, v120, v144
	v_fmac_f16_e32 v71, 0xbb9c, v182
	v_fmac_f16_e32 v127, 0x3b9c, v193
	;; [unrolled: 1-line block ×8, first 2 shown]
	v_pack_b32_f16 v89, v167, v160
	ds_write_b32 v90, v86 offset:780
	ds_write_b32 v90, v87 offset:1560
	;; [unrolled: 1-line block ×4, first 2 shown]
	v_pack_b32_f16 v85, v138, v168
	v_lshl_add_u32 v120, v79, 2, v78
	v_fmac_f16_e32 v169, 0x38b4, v154
	v_fmac_f16_e32 v123, 0x34f2, v153
	;; [unrolled: 1-line block ×4, first 2 shown]
	v_pack_b32_f16 v86, v205, v166
	v_fmac_f16_e32 v73, 0x38b4, v182
	v_pack_b32_f16 v87, v206, v207
	v_fmac_f16_e32 v68, 0xb8b4, v156
	;; [unrolled: 2-line block ×3, first 2 shown]
	v_fmac_f16_e32 v127, 0x38b4, v194
	v_pack_b32_f16 v83, v147, v150
	ds_write2_b32 v90, v89, v85 offset1:39
	ds_write_b32 v90, v86 offset:936
	ds_write_b32 v90, v87 offset:1716
	;; [unrolled: 1-line block ×4, first 2 shown]
	v_pack_b32_f16 v77, v142, v145
	v_pack_b32_f16 v83, v126, v122
	;; [unrolled: 1-line block ×4, first 2 shown]
	v_add_nc_u32_e32 v89, 0x800, v120
	v_fmac_f16_e32 v169, 0x34f2, v157
	v_pack_b32_f16 v78, v123, v155
	v_pack_b32_f16 v86, v72, v130
	v_add_nc_u32_e32 v87, 0x400, v120
	v_fmac_f16_e32 v73, 0x34f2, v162
	v_fmac_f16_e32 v68, 0x34f2, v153
	;; [unrolled: 1-line block ×4, first 2 shown]
	ds_write2_b32 v90, v77, v85 offset0:78 offset1:117
	ds_write2_b32 v87, v78, v86 offset0:17 offset1:56
	;; [unrolled: 1-line block ×3, first 2 shown]
	v_pack_b32_f16 v83, v74, v135
	v_pack_b32_f16 v79, v169, v171
	;; [unrolled: 1-line block ×5, first 2 shown]
	v_add_nc_u32_e32 v88, 0x600, v120
	v_pack_b32_f16 v123, v68, v128
	v_pack_b32_f16 v89, v67, v124
	v_add_nc_u32_e32 v136, 0xa00, v120
	v_pack_b32_f16 v78, v71, v127
	v_pack_b32_f16 v137, v65, v132
	v_add_nc_u32_e32 v138, 0xc00, v120
	ds_write_b32 v90, v83 offset:624
	ds_write2_b32 v87, v85, v79 offset0:95 offset1:212
	ds_write2_b32 v88, v77, v86 offset0:123 offset1:162
	;; [unrolled: 1-line block ×4, first 2 shown]
	v_add_co_u32 v77, s1, 0xf3c, v42
	v_add_co_ci_u32_e64 v78, s1, 0, v43, s1
	v_add_co_u32 v85, s1, 0x1000, v42
	v_add_co_ci_u32_e64 v86, s1, 0, v43, s1
	v_add_co_u32 v87, s1, 0x1800, v42
	s_waitcnt lgkmcnt(0)
	s_barrier
	buffer_gl0_inv
	s_clause 0x5
	global_load_dword v79, v[40:41], off offset:1852
	global_load_dword v83, v[77:78], off offset:300
	;; [unrolled: 1-line block ×6, first 2 shown]
	v_add_co_ci_u32_e64 v88, s1, 0, v43, s1
	s_clause 0x6
	global_load_dword v148, v[77:78], off offset:1800
	global_load_dword v149, v[85:86], off offset:1904
	;; [unrolled: 1-line block ×7, first 2 shown]
	ds_read2_b32 v[86:87], v90 offset1:75
	v_add_nc_u32_e32 v85, 0x600, v90
	ds_read2_b32 v[136:137], v90 offset0:150 offset1:225
	ds_read2_b32 v[138:139], v80 offset0:44 offset1:119
	v_add_nc_u32_e32 v88, 0xa00, v90
	ds_read2_b32 v[140:141], v85 offset0:66 offset1:141
	ds_read2_b32 v[142:143], v84 offset0:88 offset1:163
	;; [unrolled: 1-line block ×3, first 2 shown]
	ds_read_b32 v155, v90 offset:3600
	s_waitcnt lgkmcnt(6)
	v_lshrrev_b32_e32 v156, 16, v86
	v_lshrrev_b32_e32 v157, 16, v87
	s_waitcnt lgkmcnt(5)
	v_lshrrev_b32_e32 v158, 16, v136
	v_lshrrev_b32_e32 v159, 16, v137
	;; [unrolled: 3-line block ×6, first 2 shown]
	s_waitcnt lgkmcnt(0)
	v_lshrrev_b32_e32 v168, 16, v155
	s_waitcnt vmcnt(12)
	v_mul_f16_sdwa v169, v156, v79 dst_sel:DWORD dst_unused:UNUSED_PAD src0_sel:DWORD src1_sel:WORD_1
	v_mul_f16_sdwa v170, v86, v79 dst_sel:DWORD dst_unused:UNUSED_PAD src0_sel:DWORD src1_sel:WORD_1
	s_waitcnt vmcnt(11)
	v_mul_f16_sdwa v171, v157, v83 dst_sel:DWORD dst_unused:UNUSED_PAD src0_sel:DWORD src1_sel:WORD_1
	v_mul_f16_sdwa v172, v87, v83 dst_sel:DWORD dst_unused:UNUSED_PAD src0_sel:DWORD src1_sel:WORD_1
	s_waitcnt vmcnt(10)
	v_mul_f16_sdwa v173, v158, v89 dst_sel:DWORD dst_unused:UNUSED_PAD src0_sel:DWORD src1_sel:WORD_1
	v_mul_f16_sdwa v174, v136, v89 dst_sel:DWORD dst_unused:UNUSED_PAD src0_sel:DWORD src1_sel:WORD_1
	s_waitcnt vmcnt(9)
	v_mul_f16_sdwa v175, v159, v123 dst_sel:DWORD dst_unused:UNUSED_PAD src0_sel:DWORD src1_sel:WORD_1
	v_mul_f16_sdwa v176, v137, v123 dst_sel:DWORD dst_unused:UNUSED_PAD src0_sel:DWORD src1_sel:WORD_1
	s_waitcnt vmcnt(8)
	v_mul_f16_sdwa v177, v160, v146 dst_sel:DWORD dst_unused:UNUSED_PAD src0_sel:DWORD src1_sel:WORD_1
	v_mul_f16_sdwa v178, v138, v146 dst_sel:DWORD dst_unused:UNUSED_PAD src0_sel:DWORD src1_sel:WORD_1
	s_waitcnt vmcnt(7)
	v_mul_f16_sdwa v179, v161, v147 dst_sel:DWORD dst_unused:UNUSED_PAD src0_sel:DWORD src1_sel:WORD_1
	v_mul_f16_sdwa v180, v139, v147 dst_sel:DWORD dst_unused:UNUSED_PAD src0_sel:DWORD src1_sel:WORD_1
	s_waitcnt vmcnt(6)
	v_mul_f16_sdwa v181, v162, v148 dst_sel:DWORD dst_unused:UNUSED_PAD src0_sel:DWORD src1_sel:WORD_1
	v_mul_f16_sdwa v182, v140, v148 dst_sel:DWORD dst_unused:UNUSED_PAD src0_sel:DWORD src1_sel:WORD_1
	s_waitcnt vmcnt(5)
	v_mul_f16_sdwa v183, v163, v149 dst_sel:DWORD dst_unused:UNUSED_PAD src0_sel:DWORD src1_sel:WORD_1
	v_mul_f16_sdwa v184, v141, v149 dst_sel:DWORD dst_unused:UNUSED_PAD src0_sel:DWORD src1_sel:WORD_1
	s_waitcnt vmcnt(4)
	v_mul_f16_sdwa v185, v164, v150 dst_sel:DWORD dst_unused:UNUSED_PAD src0_sel:DWORD src1_sel:WORD_1
	v_mul_f16_sdwa v186, v142, v150 dst_sel:DWORD dst_unused:UNUSED_PAD src0_sel:DWORD src1_sel:WORD_1
	s_waitcnt vmcnt(3)
	v_mul_f16_sdwa v187, v165, v151 dst_sel:DWORD dst_unused:UNUSED_PAD src0_sel:DWORD src1_sel:WORD_1
	v_mul_f16_sdwa v188, v143, v151 dst_sel:DWORD dst_unused:UNUSED_PAD src0_sel:DWORD src1_sel:WORD_1
	s_waitcnt vmcnt(2)
	v_mul_f16_sdwa v189, v166, v152 dst_sel:DWORD dst_unused:UNUSED_PAD src0_sel:DWORD src1_sel:WORD_1
	v_mul_f16_sdwa v190, v144, v152 dst_sel:DWORD dst_unused:UNUSED_PAD src0_sel:DWORD src1_sel:WORD_1
	s_waitcnt vmcnt(1)
	v_mul_f16_sdwa v191, v167, v153 dst_sel:DWORD dst_unused:UNUSED_PAD src0_sel:DWORD src1_sel:WORD_1
	v_mul_f16_sdwa v192, v145, v153 dst_sel:DWORD dst_unused:UNUSED_PAD src0_sel:DWORD src1_sel:WORD_1
	s_waitcnt vmcnt(0)
	v_mul_f16_sdwa v193, v168, v154 dst_sel:DWORD dst_unused:UNUSED_PAD src0_sel:DWORD src1_sel:WORD_1
	v_mul_f16_sdwa v194, v155, v154 dst_sel:DWORD dst_unused:UNUSED_PAD src0_sel:DWORD src1_sel:WORD_1
	v_fma_f16 v86, v86, v79, -v169
	v_fmac_f16_e32 v170, v156, v79
	v_fma_f16 v79, v87, v83, -v171
	v_fmac_f16_e32 v172, v157, v83
	;; [unrolled: 2-line block ×13, first 2 shown]
	v_pack_b32_f16 v86, v86, v170
	v_pack_b32_f16 v79, v79, v172
	;; [unrolled: 1-line block ×13, first 2 shown]
	ds_write2_b32 v90, v86, v79 offset1:75
	ds_write2_b32 v90, v83, v87 offset0:150 offset1:225
	ds_write2_b32 v80, v89, v123 offset0:44 offset1:119
	;; [unrolled: 1-line block ×5, first 2 shown]
	ds_write_b32 v90, v142 offset:3600
	s_and_saveexec_b32 s2, vcc_lo
	s_cbranch_execz .LBB0_13
; %bb.12:
	s_clause 0x6
	global_load_dword v79, v[77:78], off offset:156
	global_load_dword v83, v[77:78], off offset:456
	;; [unrolled: 1-line block ×7, first 2 shown]
	v_add_co_u32 v77, s1, 0x800, v77
	v_add_co_ci_u32_e64 v78, s1, 0, v78, s1
	s_clause 0x5
	global_load_dword v147, v[77:78], off offset:208
	global_load_dword v148, v[77:78], off offset:508
	;; [unrolled: 1-line block ×6, first 2 shown]
	ds_read2_b32 v[77:78], v90 offset0:39 offset1:114
	ds_read2_b32 v[86:87], v82 offset0:61 offset1:136
	ds_read2_b32 v[136:137], v80 offset0:83 offset1:158
	ds_read2_b32 v[138:139], v85 offset0:105 offset1:180
	ds_read2_b32 v[140:141], v84 offset0:127 offset1:202
	ds_read2_b32 v[142:143], v81 offset0:21 offset1:96
	ds_read_b32 v153, v90 offset:3756
	s_waitcnt lgkmcnt(6)
	v_lshrrev_b32_e32 v154, 16, v77
	v_lshrrev_b32_e32 v155, 16, v78
	s_waitcnt lgkmcnt(5)
	v_lshrrev_b32_e32 v156, 16, v86
	v_lshrrev_b32_e32 v157, 16, v87
	;; [unrolled: 3-line block ×6, first 2 shown]
	s_waitcnt lgkmcnt(0)
	v_lshrrev_b32_e32 v166, 16, v153
	s_waitcnt vmcnt(12)
	v_mul_f16_sdwa v167, v154, v79 dst_sel:DWORD dst_unused:UNUSED_PAD src0_sel:DWORD src1_sel:WORD_1
	v_mul_f16_sdwa v168, v77, v79 dst_sel:DWORD dst_unused:UNUSED_PAD src0_sel:DWORD src1_sel:WORD_1
	s_waitcnt vmcnt(11)
	v_mul_f16_sdwa v169, v155, v83 dst_sel:DWORD dst_unused:UNUSED_PAD src0_sel:DWORD src1_sel:WORD_1
	v_mul_f16_sdwa v170, v78, v83 dst_sel:DWORD dst_unused:UNUSED_PAD src0_sel:DWORD src1_sel:WORD_1
	s_waitcnt vmcnt(10)
	v_mul_f16_sdwa v171, v156, v89 dst_sel:DWORD dst_unused:UNUSED_PAD src0_sel:DWORD src1_sel:WORD_1
	s_waitcnt vmcnt(9)
	v_mul_f16_sdwa v173, v157, v123 dst_sel:DWORD dst_unused:UNUSED_PAD src0_sel:DWORD src1_sel:WORD_1
	v_mul_f16_sdwa v174, v87, v123 dst_sel:DWORD dst_unused:UNUSED_PAD src0_sel:DWORD src1_sel:WORD_1
	s_waitcnt vmcnt(8)
	v_mul_f16_sdwa v175, v158, v144 dst_sel:DWORD dst_unused:UNUSED_PAD src0_sel:DWORD src1_sel:WORD_1
	v_mul_f16_sdwa v172, v86, v89 dst_sel:DWORD dst_unused:UNUSED_PAD src0_sel:DWORD src1_sel:WORD_1
	;; [unrolled: 1-line block ×3, first 2 shown]
	s_waitcnt vmcnt(7)
	v_mul_f16_sdwa v177, v159, v145 dst_sel:DWORD dst_unused:UNUSED_PAD src0_sel:DWORD src1_sel:WORD_1
	v_mul_f16_sdwa v178, v137, v145 dst_sel:DWORD dst_unused:UNUSED_PAD src0_sel:DWORD src1_sel:WORD_1
	s_waitcnt vmcnt(6)
	v_mul_f16_sdwa v179, v160, v146 dst_sel:DWORD dst_unused:UNUSED_PAD src0_sel:DWORD src1_sel:WORD_1
	v_mul_f16_sdwa v180, v138, v146 dst_sel:DWORD dst_unused:UNUSED_PAD src0_sel:DWORD src1_sel:WORD_1
	v_fma_f16 v77, v77, v79, -v167
	v_fmac_f16_e32 v168, v154, v79
	v_fma_f16 v78, v78, v83, -v169
	v_fmac_f16_e32 v170, v155, v83
	v_fma_f16 v79, v86, v89, -v171
	v_fma_f16 v83, v87, v123, -v173
	v_fmac_f16_e32 v174, v157, v123
	v_fma_f16 v86, v136, v144, -v175
	s_waitcnt vmcnt(5)
	v_mul_f16_sdwa v123, v161, v147 dst_sel:DWORD dst_unused:UNUSED_PAD src0_sel:DWORD src1_sel:WORD_1
	v_mul_f16_sdwa v136, v139, v147 dst_sel:DWORD dst_unused:UNUSED_PAD src0_sel:DWORD src1_sel:WORD_1
	v_fmac_f16_e32 v172, v156, v89
	v_fmac_f16_e32 v176, v158, v144
	v_fma_f16 v87, v137, v145, -v177
	v_fmac_f16_e32 v178, v159, v145
	v_fma_f16 v89, v138, v146, -v179
	s_waitcnt vmcnt(4)
	v_mul_f16_sdwa v137, v162, v148 dst_sel:DWORD dst_unused:UNUSED_PAD src0_sel:DWORD src1_sel:WORD_1
	v_mul_f16_sdwa v138, v140, v148 dst_sel:DWORD dst_unused:UNUSED_PAD src0_sel:DWORD src1_sel:WORD_1
	s_waitcnt vmcnt(3)
	v_mul_f16_sdwa v144, v163, v149 dst_sel:DWORD dst_unused:UNUSED_PAD src0_sel:DWORD src1_sel:WORD_1
	v_mul_f16_sdwa v145, v141, v149 dst_sel:DWORD dst_unused:UNUSED_PAD src0_sel:DWORD src1_sel:WORD_1
	v_fmac_f16_e32 v180, v160, v146
	s_waitcnt vmcnt(2)
	v_mul_f16_sdwa v146, v164, v150 dst_sel:DWORD dst_unused:UNUSED_PAD src0_sel:DWORD src1_sel:WORD_1
	v_mul_f16_sdwa v154, v142, v150 dst_sel:DWORD dst_unused:UNUSED_PAD src0_sel:DWORD src1_sel:WORD_1
	s_waitcnt vmcnt(1)
	v_mul_f16_sdwa v155, v165, v151 dst_sel:DWORD dst_unused:UNUSED_PAD src0_sel:DWORD src1_sel:WORD_1
	v_mul_f16_sdwa v156, v143, v151 dst_sel:DWORD dst_unused:UNUSED_PAD src0_sel:DWORD src1_sel:WORD_1
	;; [unrolled: 3-line block ×3, first 2 shown]
	v_pack_b32_f16 v77, v77, v168
	v_pack_b32_f16 v78, v78, v170
	v_fma_f16 v123, v139, v147, -v123
	v_fmac_f16_e32 v136, v161, v147
	v_pack_b32_f16 v79, v79, v172
	v_pack_b32_f16 v83, v83, v174
	v_fma_f16 v137, v140, v148, -v137
	v_fmac_f16_e32 v138, v162, v148
	v_fma_f16 v139, v141, v149, -v144
	v_fmac_f16_e32 v145, v163, v149
	;; [unrolled: 2-line block ×5, first 2 shown]
	v_pack_b32_f16 v86, v86, v176
	v_pack_b32_f16 v87, v87, v178
	;; [unrolled: 1-line block ×3, first 2 shown]
	ds_write2_b32 v90, v77, v78 offset0:39 offset1:114
	ds_write2_b32 v82, v79, v83 offset0:61 offset1:136
	v_pack_b32_f16 v77, v123, v136
	v_pack_b32_f16 v78, v137, v138
	;; [unrolled: 1-line block ×6, first 2 shown]
	ds_write2_b32 v80, v86, v87 offset0:83 offset1:158
	ds_write2_b32 v85, v89, v77 offset0:105 offset1:180
	;; [unrolled: 1-line block ×4, first 2 shown]
	ds_write_b32 v90, v123 offset:3756
.LBB0_13:
	s_or_b32 exec_lo, exec_lo, s2
	s_waitcnt lgkmcnt(0)
	s_barrier
	buffer_gl0_inv
	ds_read2_b32 v[78:79], v90 offset1:75
	ds_read2_b32 v[86:87], v90 offset0:150 offset1:225
	ds_read2_b32 v[82:83], v80 offset0:44 offset1:119
	;; [unrolled: 1-line block ×5, first 2 shown]
	ds_read_b32 v175, v90 offset:3600
	s_and_saveexec_b32 s1, vcc_lo
	s_cbranch_execz .LBB0_15
; %bb.14:
	v_lshl_add_u32 v65, v44, 2, v104
	ds_read_b32 v126, v90 offset:156
	ds_read2_b32 v[68:69], v65 offset0:114 offset1:189
	v_add_nc_u32_e32 v66, 0x400, v65
	v_add_nc_u32_e32 v67, 0x800, v65
	;; [unrolled: 1-line block ×4, first 2 shown]
	ds_read2_b32 v[72:73], v66 offset0:8 offset1:83
	ds_read2_b32 v[70:71], v66 offset0:158 offset1:233
	;; [unrolled: 1-line block ×5, first 2 shown]
	s_waitcnt lgkmcnt(6)
	v_lshrrev_b32_e32 v122, 16, v126
	s_waitcnt lgkmcnt(5)
	v_lshrrev_b32_e32 v128, 16, v68
	v_lshrrev_b32_e32 v131, 16, v69
	s_waitcnt lgkmcnt(2)
	v_lshrrev_b32_e32 v135, 16, v74
	v_lshrrev_b32_e32 v130, 16, v72
	;; [unrolled: 1-line block ×6, first 2 shown]
	s_waitcnt lgkmcnt(1)
	v_lshrrev_b32_e32 v134, 16, v76
	v_lshrrev_b32_e32 v124, 16, v77
	s_waitcnt lgkmcnt(0)
	v_lshrrev_b32_e32 v132, 16, v65
	v_lshrrev_b32_e32 v121, 16, v66
	v_mov_b32_e32 v67, v77
.LBB0_15:
	s_or_b32 exec_lo, exec_lo, s1
	v_sub_f16_e32 v158, v128, v121
	v_add_f16_e32 v165, v121, v128
	s_waitcnt lgkmcnt(6)
	v_pk_add_f16 v77, v78, v79
	v_add_f16_e32 v136, v66, v68
	v_sub_f16_e32 v160, v131, v132
	v_mul_f16_e32 v148, 0xb770, v158
	v_sub_f16_e32 v139, v68, v66
	v_mul_f16_e32 v156, 0x3b15, v165
	v_add_f16_e32 v137, v65, v69
	v_add_f16_e32 v166, v132, v131
	v_fma_f16 v123, v136, 0x3b15, -v148
	v_mul_f16_e32 v149, 0xba95, v160
	s_waitcnt lgkmcnt(5)
	v_pk_add_f16 v77, v77, v86
	v_fmamk_f16 v140, v139, 0xb770, v156
	v_sub_f16_e32 v138, v69, v65
	v_mul_f16_e32 v157, 0x388b, v166
	v_add_f16_e32 v123, v126, v123
	v_sub_f16_e32 v162, v130, v124
	v_fma_f16 v141, v137, 0x388b, -v149
	v_add_f16_e32 v168, v124, v130
	v_pk_add_f16 v77, v77, v87
	v_add_f16_e32 v142, v122, v140
	v_fmamk_f16 v143, v138, 0xba95, v157
	v_add_f16_e32 v140, v67, v72
	v_mul_f16_e32 v150, 0xbbf1, v162
	v_add_f16_e32 v123, v141, v123
	v_sub_f16_e32 v141, v72, v67
	v_mul_f16_e32 v152, 0x2fb7, v168
	v_sub_f16_e32 v164, v129, v134
	v_add_f16_e32 v167, v134, v129
	s_waitcnt lgkmcnt(4)
	v_pk_add_f16 v77, v77, v82
	v_add_f16_e32 v144, v143, v142
	v_fma_f16 v145, v140, 0x2fb7, -v150
	v_fmamk_f16 v146, v141, 0xbbf1, v152
	v_add_f16_e32 v142, v76, v73
	v_sub_f16_e32 v143, v73, v76
	v_mul_f16_e32 v151, 0xbb7b, v164
	v_mul_f16_e32 v154, 0xb5ac, v167
	v_sub_f16_e32 v169, v125, v133
	v_add_f16_e32 v170, v133, v125
	v_pk_add_f16 v77, v77, v83
	v_add_f16_e32 v123, v145, v123
	v_add_f16_e32 v146, v146, v144
	v_fma_f16 v147, v142, 0xb5ac, -v151
	v_fmamk_f16 v155, v143, 0xbb7b, v154
	v_add_f16_e32 v144, v75, v70
	v_sub_f16_e32 v145, v70, v75
	v_mul_f16_e32 v153, 0xb94e, v169
	v_mul_f16_e32 v159, 0xb9fd, v170
	v_sub_f16_e32 v163, v127, v135
	v_add_f16_e32 v171, v135, v127
	s_waitcnt lgkmcnt(3)
	v_pk_add_f16 v77, v77, v80
	v_add_f16_e32 v123, v147, v123
	v_add_f16_e32 v172, v155, v146
	v_fma_f16 v173, v144, 0xb9fd, -v153
	v_fmamk_f16 v174, v145, 0xb94e, v159
	v_add_f16_e32 v146, v74, v71
	v_sub_f16_e32 v147, v71, v74
	v_mul_f16_e32 v155, 0xb3a8, v163
	v_mul_f16_e32 v161, 0xbbc4, v171
	v_pk_add_f16 v77, v77, v81
	v_add_f16_e32 v123, v173, v123
	v_add_f16_e32 v172, v174, v172
	v_fma_f16 v174, v146, 0xbbc4, -v155
	v_fmamk_f16 v176, v147, 0xb3a8, v161
	s_waitcnt lgkmcnt(2)
	v_pk_add_f16 v177, v77, v84
	s_waitcnt lgkmcnt(0)
	v_pk_add_f16 v173, v79, v175 neg_lo:[0,1] neg_hi:[0,1]
	v_pk_add_f16 v199, v86, v89 neg_lo:[0,1] neg_hi:[0,1]
	v_add_f16_e32 v77, v174, v123
	v_add_f16_e32 v123, v176, v172
	v_pk_add_f16 v172, v177, v85
	v_pk_add_f16 v174, v175, v79
	v_pk_mul_f16 v176, 0xb770, v173 op_sel_hi:[0,1]
	v_mov_b32_e32 v179, 0x388b
	v_pk_add_f16 v202, v89, v86
	v_pk_add_f16 v178, v172, v88
	v_mov_b32_e32 v177, 0xba95
	v_pk_fma_f16 v79, 0x3b15, v174, v176 op_sel:[0,0,1] op_sel_hi:[0,1,0]
	v_pk_fma_f16 v172, 0x3b15, v174, v176 op_sel:[0,0,1] op_sel_hi:[0,1,0] neg_lo:[0,0,1] neg_hi:[0,0,1]
	v_mul_f16_sdwa v183, v174, v179 dst_sel:DWORD dst_unused:UNUSED_PAD src0_sel:WORD_1 src1_sel:DWORD
	v_pk_add_f16 v178, v178, v89
	v_pk_mul_f16 v89, 0xba95, v199 op_sel_hi:[0,1]
	v_mov_b32_e32 v189, 0xb5ac
	v_bfi_b32 v180, 0xffff, v79, v172
	v_mul_f16_sdwa v176, v173, v177 dst_sel:DWORD dst_unused:UNUSED_PAD src0_sel:WORD_1 src1_sel:DWORD
	v_pk_add_f16 v175, v178, v175
	v_pk_fma_f16 v86, 0x388b, v202, v89 op_sel:[0,0,1] op_sel_hi:[0,1,0]
	v_pk_fma_f16 v89, 0x388b, v202, v89 op_sel:[0,0,1] op_sel_hi:[0,1,0] neg_lo:[0,0,1] neg_hi:[0,0,1]
	v_pk_add_f16 v178, v78, v180
	v_fmamk_f16 v184, v173, 0x3a95, v183
	v_mov_b32_e32 v185, 0x2fb7
	v_mov_b32_e32 v188, 0xbb7b
	v_mul_f16_sdwa v204, v202, v189 dst_sel:DWORD dst_unused:UNUSED_PAD src0_sel:WORD_1 src1_sel:DWORD
	v_bfi_b32 v205, 0xffff, v86, v89
	v_fmamk_f16 v181, v174, 0x388b, v176
	v_mov_b32_e32 v182, 0xbbf1
	v_fma_f16 v176, v174, 0x388b, -v176
	v_fmac_f16_e32 v183, 0xba95, v173
	v_add_f16_sdwa v184, v78, v184 dst_sel:DWORD dst_unused:UNUSED_PAD src0_sel:WORD_1 src1_sel:DWORD
	v_mul_f16_sdwa v187, v174, v185 dst_sel:DWORD dst_unused:UNUSED_PAD src0_sel:WORD_1 src1_sel:DWORD
	v_mul_f16_sdwa v203, v199, v188 dst_sel:DWORD dst_unused:UNUSED_PAD src0_sel:WORD_1 src1_sel:DWORD
	v_fmamk_f16 v208, v199, 0x3b7b, v204
	v_pk_add_f16 v178, v205, v178
	v_mov_b32_e32 v205, 0xbbc4
	v_add_f16_e32 v180, v78, v181
	v_mul_f16_sdwa v181, v173, v182 dst_sel:DWORD dst_unused:UNUSED_PAD src0_sel:WORD_1 src1_sel:DWORD
	v_add_f16_e32 v176, v78, v176
	v_add_f16_sdwa v183, v78, v183 dst_sel:DWORD dst_unused:UNUSED_PAD src0_sel:WORD_1 src1_sel:DWORD
	v_fmamk_f16 v190, v173, 0x3bf1, v187
	v_mul_f16_sdwa v191, v173, v188 dst_sel:DWORD dst_unused:UNUSED_PAD src0_sel:WORD_1 src1_sel:DWORD
	v_fmamk_f16 v206, v202, 0xb5ac, v203
	v_mov_b32_e32 v207, 0xb3a8
	v_add_f16_e32 v184, v208, v184
	v_fma_f16 v203, v202, 0xb5ac, -v203
	v_fmac_f16_e32 v204, 0xbb7b, v199
	v_mul_f16_sdwa v208, v202, v205 dst_sel:DWORD dst_unused:UNUSED_PAD src0_sel:WORD_1 src1_sel:DWORD
	v_mov_b32_e32 v210, 0x394e
	v_fmamk_f16 v186, v174, 0x2fb7, v181
	v_add_f16_sdwa v190, v78, v190 dst_sel:DWORD dst_unused:UNUSED_PAD src0_sel:WORD_1 src1_sel:DWORD
	v_fmamk_f16 v193, v174, 0xb5ac, v191
	v_add_f16_e32 v180, v206, v180
	v_mul_f16_sdwa v206, v199, v207 dst_sel:DWORD dst_unused:UNUSED_PAD src0_sel:WORD_1 src1_sel:DWORD
	v_add_f16_e32 v176, v203, v176
	v_add_f16_e32 v183, v204, v183
	v_fmamk_f16 v203, v199, 0x33a8, v208
	v_mul_f16_sdwa v204, v199, v210 dst_sel:DWORD dst_unused:UNUSED_PAD src0_sel:WORD_1 src1_sel:DWORD
	v_add_f16_e32 v186, v78, v186
	v_fma_f16 v181, v174, 0x2fb7, -v181
	v_mul_f16_sdwa v192, v174, v189 dst_sel:DWORD dst_unused:UNUSED_PAD src0_sel:WORD_1 src1_sel:DWORD
	v_mov_b32_e32 v195, 0xb94e
	v_mov_b32_e32 v196, 0xb9fd
	v_fma_f16 v191, v174, 0xb5ac, -v191
	v_add_f16_e32 v193, v78, v193
	v_fmamk_f16 v209, v202, 0xbbc4, v206
	v_add_f16_e32 v190, v203, v190
	v_fmamk_f16 v203, v202, 0xb9fd, v204
	v_fmac_f16_e32 v187, 0xbbf1, v173
	v_add_f16_e32 v181, v78, v181
	v_fmamk_f16 v194, v173, 0x3b7b, v192
	v_mul_f16_sdwa v197, v173, v195 dst_sel:DWORD dst_unused:UNUSED_PAD src0_sel:WORD_1 src1_sel:DWORD
	v_add_f16_e32 v191, v78, v191
	v_add_f16_e32 v186, v209, v186
	v_fma_f16 v206, v202, 0xbbc4, -v206
	v_mul_f16_sdwa v209, v202, v196 dst_sel:DWORD dst_unused:UNUSED_PAD src0_sel:WORD_1 src1_sel:DWORD
	v_mov_b32_e32 v211, 0x3bf1
	v_add_f16_e32 v193, v203, v193
	v_fma_f16 v203, v202, 0xb9fd, -v204
	v_add_f16_sdwa v187, v78, v187 dst_sel:DWORD dst_unused:UNUSED_PAD src0_sel:WORD_1 src1_sel:DWORD
	v_add_f16_sdwa v194, v78, v194 dst_sel:DWORD dst_unused:UNUSED_PAD src0_sel:WORD_1 src1_sel:DWORD
	v_mul_f16_sdwa v198, v174, v196 dst_sel:DWORD dst_unused:UNUSED_PAD src0_sel:WORD_1 src1_sel:DWORD
	v_fmac_f16_e32 v192, 0xbb7b, v173
	v_fmamk_f16 v200, v174, 0xb9fd, v197
	v_fma_f16 v197, v174, 0xb9fd, -v197
	v_fmac_f16_e32 v208, 0xb3a8, v199
	v_add_f16_e32 v181, v206, v181
	v_fmamk_f16 v206, v199, 0xb94e, v209
	v_mul_f16_sdwa v204, v199, v211 dst_sel:DWORD dst_unused:UNUSED_PAD src0_sel:WORD_1 src1_sel:DWORD
	v_add_f16_e32 v191, v203, v191
	v_pk_add_f16 v203, v87, v88 neg_lo:[0,1] neg_hi:[0,1]
	v_fmamk_f16 v201, v173, 0x394e, v198
	v_add_f16_sdwa v192, v78, v192 dst_sel:DWORD dst_unused:UNUSED_PAD src0_sel:WORD_1 src1_sel:DWORD
	v_add_f16_e32 v200, v78, v200
	v_fmac_f16_e32 v198, 0xb94e, v173
	v_add_f16_e32 v197, v78, v197
	v_add_f16_e32 v187, v208, v187
	v_add_f16_e32 v194, v206, v194
	v_fmac_f16_e32 v209, 0x394e, v199
	v_mul_f16_sdwa v206, v202, v185 dst_sel:DWORD dst_unused:UNUSED_PAD src0_sel:WORD_1 src1_sel:DWORD
	v_fmamk_f16 v208, v202, 0x2fb7, v204
	v_pk_add_f16 v87, v88, v87
	v_pk_mul_f16 v88, 0xbbf1, v203 op_sel_hi:[0,1]
	v_fma_f16 v204, v202, 0x2fb7, -v204
	v_add_f16_sdwa v201, v78, v201 dst_sel:DWORD dst_unused:UNUSED_PAD src0_sel:WORD_1 src1_sel:DWORD
	v_add_f16_sdwa v198, v78, v198 dst_sel:DWORD dst_unused:UNUSED_PAD src0_sel:WORD_1 src1_sel:DWORD
	v_add_f16_e32 v192, v209, v192
	v_fmamk_f16 v209, v199, 0xbbf1, v206
	v_add_f16_e32 v200, v208, v200
	v_fmac_f16_e32 v206, 0x3bf1, v199
	v_pk_fma_f16 v208, 0x2fb7, v87, v88 op_sel:[0,0,1] op_sel_hi:[0,1,0]
	v_pk_fma_f16 v88, 0x2fb7, v87, v88 op_sel:[0,0,1] op_sel_hi:[0,1,0] neg_lo:[0,0,1] neg_hi:[0,0,1]
	v_add_f16_e32 v197, v204, v197
	v_mul_f16_sdwa v204, v203, v207 dst_sel:DWORD dst_unused:UNUSED_PAD src0_sel:WORD_1 src1_sel:DWORD
	v_mul_f16_sdwa v207, v87, v205 dst_sel:DWORD dst_unused:UNUSED_PAD src0_sel:WORD_1 src1_sel:DWORD
	v_add_f16_e32 v201, v209, v201
	v_add_f16_e32 v198, v206, v198
	v_bfi_b32 v206, 0xffff, v208, v88
	v_mov_b32_e32 v209, 0x3b7b
	v_fmamk_f16 v212, v87, 0xbbc4, v204
	v_fmamk_f16 v213, v203, 0x33a8, v207
	v_fma_f16 v204, v87, 0xbbc4, -v204
	v_pk_add_f16 v178, v206, v178
	v_mul_f16_sdwa v206, v203, v209 dst_sel:DWORD dst_unused:UNUSED_PAD src0_sel:WORD_1 src1_sel:DWORD
	v_add_f16_e32 v180, v212, v180
	v_add_f16_e32 v184, v213, v184
	v_fmac_f16_e32 v207, 0xb3a8, v203
	v_mul_f16_sdwa v212, v87, v189 dst_sel:DWORD dst_unused:UNUSED_PAD src0_sel:WORD_1 src1_sel:DWORD
	v_mov_b32_e32 v213, 0x3b15
	v_add_f16_e32 v176, v204, v176
	v_fmamk_f16 v204, v87, 0xb5ac, v206
	v_mov_b32_e32 v209, 0x3770
	v_add_f16_e32 v183, v207, v183
	v_fmamk_f16 v207, v203, 0xbb7b, v212
	v_mul_f16_sdwa v214, v87, v213 dst_sel:DWORD dst_unused:UNUSED_PAD src0_sel:WORD_1 src1_sel:DWORD
	v_add_f16_e32 v186, v204, v186
	v_mul_f16_sdwa v204, v203, v209 dst_sel:DWORD dst_unused:UNUSED_PAD src0_sel:WORD_1 src1_sel:DWORD
	v_fma_f16 v206, v87, 0xb5ac, -v206
	v_add_f16_e32 v190, v207, v190
	v_fmamk_f16 v207, v203, 0xb770, v214
	v_fmac_f16_e32 v212, 0x3b7b, v203
	v_fmamk_f16 v215, v87, 0x3b15, v204
	v_add_f16_e32 v181, v206, v181
	v_mul_f16_sdwa v206, v203, v177 dst_sel:DWORD dst_unused:UNUSED_PAD src0_sel:WORD_1 src1_sel:DWORD
	v_add_f16_e32 v194, v207, v194
	v_pk_add_f16 v207, v82, v85 neg_lo:[0,1] neg_hi:[0,1]
	v_add_f16_e32 v187, v212, v187
	v_add_f16_e32 v193, v215, v193
	v_fma_f16 v204, v87, 0x3b15, -v204
	v_fmamk_f16 v212, v87, 0x388b, v206
	v_mul_f16_sdwa v215, v87, v179 dst_sel:DWORD dst_unused:UNUSED_PAD src0_sel:WORD_1 src1_sel:DWORD
	v_pk_add_f16 v82, v85, v82
	v_pk_mul_f16 v85, 0xbb7b, v207 op_sel_hi:[0,1]
	v_fmac_f16_e32 v214, 0x3770, v203
	v_add_f16_e32 v191, v204, v191
	v_add_f16_e32 v200, v212, v200
	v_fmamk_f16 v204, v203, 0x3a95, v215
	v_pk_fma_f16 v212, 0xb5ac, v82, v85 op_sel:[0,0,1] op_sel_hi:[0,1,0]
	v_pk_fma_f16 v85, 0xb5ac, v82, v85 op_sel:[0,0,1] op_sel_hi:[0,1,0] neg_lo:[0,0,1] neg_hi:[0,0,1]
	v_mul_f16_sdwa v210, v207, v210 dst_sel:DWORD dst_unused:UNUSED_PAD src0_sel:WORD_1 src1_sel:DWORD
	v_fma_f16 v206, v87, 0x388b, -v206
	v_add_f16_e32 v192, v214, v192
	v_add_f16_e32 v201, v204, v201
	v_bfi_b32 v204, 0xffff, v212, v85
	v_fmamk_f16 v214, v82, 0xb9fd, v210
	v_add_f16_e32 v197, v206, v197
	v_mul_f16_sdwa v206, v82, v196 dst_sel:DWORD dst_unused:UNUSED_PAD src0_sel:WORD_1 src1_sel:DWORD
	v_fmac_f16_e32 v215, 0xba95, v203
	v_pk_add_f16 v178, v204, v178
	v_add_f16_e32 v180, v214, v180
	v_mul_f16_sdwa v204, v207, v209 dst_sel:DWORD dst_unused:UNUSED_PAD src0_sel:WORD_1 src1_sel:DWORD
	v_fmamk_f16 v214, v207, 0xb94e, v206
	v_fmac_f16_e32 v206, 0x394e, v207
	v_add_f16_e32 v198, v215, v198
	v_mul_f16_sdwa v215, v82, v213 dst_sel:DWORD dst_unused:UNUSED_PAD src0_sel:WORD_1 src1_sel:DWORD
	v_fma_f16 v210, v82, 0xb9fd, -v210
	v_fmamk_f16 v216, v82, 0x3b15, v204
	v_add_f16_e32 v183, v206, v183
	v_mul_f16_sdwa v182, v207, v182 dst_sel:DWORD dst_unused:UNUSED_PAD src0_sel:WORD_1 src1_sel:DWORD
	v_mul_f16_sdwa v206, v82, v185 dst_sel:DWORD dst_unused:UNUSED_PAD src0_sel:WORD_1 src1_sel:DWORD
	v_add_f16_e32 v184, v214, v184
	v_fmamk_f16 v214, v207, 0xb770, v215
	v_add_f16_e32 v176, v210, v176
	v_add_f16_e32 v186, v216, v186
	v_fmamk_f16 v210, v82, 0x2fb7, v182
	v_fmamk_f16 v216, v207, 0x3bf1, v206
	v_add_f16_e32 v190, v214, v190
	v_fma_f16 v204, v82, 0x3b15, -v204
	v_mov_b32_e32 v214, 0x33a8
	v_add_f16_e32 v193, v210, v193
	v_add_f16_e32 v194, v216, v194
	v_fma_f16 v182, v82, 0x2fb7, -v182
	v_pk_add_f16 v210, v83, v84 neg_lo:[0,1] neg_hi:[0,1]
	v_fmac_f16_e32 v206, 0xbbf1, v207
	v_mul_f16_sdwa v216, v82, v205 dst_sel:DWORD dst_unused:UNUSED_PAD src0_sel:WORD_1 src1_sel:DWORD
	v_fmac_f16_e32 v215, 0x3770, v207
	v_add_f16_e32 v181, v204, v181
	v_mul_f16_sdwa v204, v207, v214 dst_sel:DWORD dst_unused:UNUSED_PAD src0_sel:WORD_1 src1_sel:DWORD
	v_pk_add_f16 v83, v84, v83
	v_pk_mul_f16 v84, 0xb94e, v210 op_sel_hi:[0,1]
	v_add_f16_e32 v182, v182, v191
	v_add_f16_e32 v191, v206, v192
	v_fmamk_f16 v192, v207, 0xb3a8, v216
	v_add_f16_e32 v187, v215, v187
	v_fmamk_f16 v215, v82, 0xbbc4, v204
	v_pk_fma_f16 v206, 0xb9fd, v83, v84 op_sel:[0,0,1] op_sel_hi:[0,1,0]
	v_pk_fma_f16 v84, 0xb9fd, v83, v84 op_sel:[0,0,1] op_sel_hi:[0,1,0] neg_lo:[0,0,1] neg_hi:[0,0,1]
	v_fma_f16 v204, v82, 0xbbc4, -v204
	v_add_f16_e32 v192, v192, v201
	v_mul_f16_sdwa v201, v210, v211 dst_sel:DWORD dst_unused:UNUSED_PAD src0_sel:WORD_1 src1_sel:DWORD
	v_mul_f16_sdwa v185, v83, v185 dst_sel:DWORD dst_unused:UNUSED_PAD src0_sel:WORD_1 src1_sel:DWORD
	v_bfi_b32 v211, 0xffff, v206, v84
	v_add_f16_e32 v197, v204, v197
	v_mul_f16_sdwa v177, v210, v177 dst_sel:DWORD dst_unused:UNUSED_PAD src0_sel:WORD_1 src1_sel:DWORD
	v_fmamk_f16 v204, v83, 0x2fb7, v201
	v_fma_f16 v201, v83, 0x2fb7, -v201
	v_pk_add_f16 v178, v211, v178
	v_fmamk_f16 v211, v210, 0xbbf1, v185
	v_fmac_f16_e32 v185, 0x3bf1, v210
	v_add_f16_e32 v180, v204, v180
	v_fmamk_f16 v204, v83, 0x388b, v177
	v_add_f16_e32 v176, v201, v176
	v_mul_f16_sdwa v201, v83, v179 dst_sel:DWORD dst_unused:UNUSED_PAD src0_sel:WORD_1 src1_sel:DWORD
	v_add_f16_e32 v183, v185, v183
	v_add_f16_e32 v184, v211, v184
	;; [unrolled: 1-line block ×3, first 2 shown]
	v_mul_f16_sdwa v186, v210, v214 dst_sel:DWORD dst_unused:UNUSED_PAD src0_sel:WORD_1 src1_sel:DWORD
	v_mul_f16_sdwa v204, v83, v205 dst_sel:DWORD dst_unused:UNUSED_PAD src0_sel:WORD_1 src1_sel:DWORD
	v_fmamk_f16 v205, v210, 0x3a95, v201
	v_fma_f16 v177, v83, 0x388b, -v177
	v_fmac_f16_e32 v201, 0xba95, v210
	v_fmamk_f16 v211, v83, 0xbbc4, v186
	v_fmamk_f16 v214, v210, 0xb3a8, v204
	v_add_f16_e32 v190, v205, v190
	v_add_f16_e32 v177, v177, v181
	;; [unrolled: 1-line block ×5, first 2 shown]
	v_mul_f16_sdwa v194, v210, v209 dst_sel:DWORD dst_unused:UNUSED_PAD src0_sel:WORD_1 src1_sel:DWORD
	v_fma_f16 v186, v83, 0xbbc4, -v186
	v_pk_add_f16 v205, v80, v81 neg_lo:[0,1] neg_hi:[0,1]
	v_fmac_f16_e32 v204, 0x33a8, v210
	v_pk_add_f16 v80, v81, v80
	v_fmamk_f16 v211, v83, 0x3b15, v194
	v_add_f16_e32 v182, v186, v182
	v_fma_f16 v194, v83, 0x3b15, -v194
	v_add_f16_e32 v186, v204, v191
	v_mul_f16_sdwa v204, v205, v209 dst_sel:DWORD dst_unused:UNUSED_PAD src0_sel:WORD_1 src1_sel:DWORD
	v_mul_f16_sdwa v209, v80, v213 dst_sel:DWORD dst_unused:UNUSED_PAD src0_sel:WORD_1 src1_sel:DWORD
	v_add_f16_e32 v200, v215, v200
	v_pk_mul_f16 v81, 0xb3a8, v205 op_sel_hi:[0,1]
	v_add_f16_e32 v194, v194, v197
	v_mul_f16_sdwa v195, v205, v195 dst_sel:DWORD dst_unused:UNUSED_PAD src0_sel:WORD_1 src1_sel:DWORD
	v_fmamk_f16 v197, v205, 0xb770, v209
	v_fmac_f16_e32 v216, 0x33a8, v207
	v_mul_f16_sdwa v201, v83, v213 dst_sel:DWORD dst_unused:UNUSED_PAD src0_sel:WORD_1 src1_sel:DWORD
	v_add_f16_e32 v191, v211, v200
	v_pk_fma_f16 v200, 0xbbc4, v80, v81 op_sel:[0,0,1] op_sel_hi:[0,1,0]
	v_pk_fma_f16 v81, 0xbbc4, v80, v81 op_sel:[0,0,1] op_sel_hi:[0,1,0] neg_lo:[0,0,1] neg_hi:[0,0,1]
	v_fmamk_f16 v213, v80, 0x3b15, v204
	v_add_f16_e32 v184, v197, v184
	v_fma_f16 v197, v80, 0x3b15, -v204
	v_fmamk_f16 v204, v80, 0xb9fd, v195
	v_fma_f16 v195, v80, 0xb9fd, -v195
	v_mul_f16_sdwa v179, v80, v179 dst_sel:DWORD dst_unused:UNUSED_PAD src0_sel:WORD_1 src1_sel:DWORD
	v_add_f16_e32 v198, v216, v198
	v_fmamk_f16 v214, v210, 0xb770, v201
	v_fmac_f16_e32 v201, 0x3770, v210
	v_bfi_b32 v211, 0xffff, v200, v81
	v_add_f16_e32 v177, v195, v177
	v_fmamk_f16 v195, v205, 0xba95, v179
	v_fmac_f16_e32 v179, 0x3a95, v205
	v_mul_f16_sdwa v188, v205, v188 dst_sel:DWORD dst_unused:UNUSED_PAD src0_sel:WORD_1 src1_sel:DWORD
	v_mul_f16_sdwa v189, v80, v189 dst_sel:DWORD dst_unused:UNUSED_PAD src0_sel:WORD_1 src1_sel:DWORD
	v_add_f16_e32 v192, v214, v192
	v_add_f16_e32 v198, v201, v198
	v_pk_add_f16 v178, v211, v178
	v_mov_b32_e32 v201, 0x3a95
	v_mul_f16_sdwa v196, v80, v196 dst_sel:DWORD dst_unused:UNUSED_PAD src0_sel:WORD_1 src1_sel:DWORD
	v_add_f16_e32 v193, v195, v193
	v_add_f16_e32 v179, v179, v186
	v_fmamk_f16 v186, v80, 0xb5ac, v188
	v_fmamk_f16 v195, v205, 0x3b7b, v189
	v_pk_mul_f16 v174, 0xbbc4, v174 op_sel_hi:[0,1]
	s_barrier
	buffer_gl0_inv
	v_add_f16_e32 v180, v213, v180
	v_add_f16_e32 v176, v197, v176
	v_mul_f16_sdwa v197, v205, v201 dst_sel:DWORD dst_unused:UNUSED_PAD src0_sel:WORD_1 src1_sel:DWORD
	v_fmamk_f16 v201, v205, 0x394e, v196
	v_add_f16_e32 v186, v186, v191
	v_add_f16_e32 v191, v195, v192
	v_pk_fma_f16 v192, 0xb3a8, v173, v174 op_sel:[0,0,1] op_sel_hi:[0,1,0]
	ds_write2_b32 v106, v175, v178 offset1:1
	v_pk_mul_f16 v175, 0x3b15, v202 op_sel_hi:[0,1]
	v_add_f16_e32 v185, v204, v185
	v_add_f16_e32 v190, v201, v190
	v_fma_f16 v188, v80, 0xb5ac, -v188
	v_alignbit_b32 v178, s0, v192, 16
	v_pack_b32_f16 v180, v180, v184
	v_pk_fma_f16 v173, 0xb3a8, v173, v174 op_sel:[0,0,1] op_sel_hi:[0,1,0] neg_lo:[0,1,0] neg_hi:[0,1,0]
	v_pk_fma_f16 v174, 0x3770, v199, v175 op_sel:[0,0,1] op_sel_hi:[0,1,0]
	v_pk_mul_f16 v87, 0xb9fd, v87 op_sel_hi:[0,1]
	v_alignbit_b32 v184, s0, v78, 16
	v_add_f16_e32 v188, v188, v194
	v_pack_b32_f16 v185, v185, v190
	v_pk_add_f16 v178, v78, v178
	v_pk_add_f16 v173, v78, v173 op_sel:[1,0] op_sel_hi:[0,1]
	v_alignbit_b32 v190, s0, v174, 16
	v_pk_fma_f16 v175, 0x3770, v199, v175 op_sel:[0,0,1] op_sel_hi:[0,1,0] neg_lo:[0,1,0] neg_hi:[0,1,0]
	v_pk_fma_f16 v194, 0xb94e, v203, v87 op_sel:[0,0,1] op_sel_hi:[0,1,0]
	v_pk_add_f16 v184, v184, v192
	v_pk_mul_f16 v82, 0x388b, v82 op_sel_hi:[0,1]
	v_bfi_b32 v79, 0xffff, v172, v79
	v_fmac_f16_e32 v196, 0xb94e, v205
	v_pk_add_f16 v178, v190, v178
	v_pk_add_f16 v173, v175, v173
	v_alignbit_b32 v175, s0, v194, 16
	v_pk_fma_f16 v87, 0xb94e, v203, v87 op_sel:[0,0,1] op_sel_hi:[0,1,0] neg_lo:[0,1,0] neg_hi:[0,1,0]
	v_pk_fma_f16 v190, 0x3a95, v207, v82 op_sel:[0,0,1] op_sel_hi:[0,1,0]
	v_pk_add_f16 v174, v174, v184
	v_pk_mul_f16 v83, 0xb5ac, v83 op_sel_hi:[0,1]
	v_pk_add_f16 v78, v78, v79
	v_bfi_b32 v79, 0xffff, v89, v86
	v_fmamk_f16 v204, v80, 0x388b, v197
	v_add_f16_e32 v181, v196, v181
	v_fma_f16 v196, v80, 0x388b, -v197
	v_pk_add_f16 v175, v175, v178
	v_pk_add_f16 v87, v87, v173
	v_alignbit_b32 v173, s0, v190, 16
	v_pk_fma_f16 v82, 0x3a95, v207, v82 op_sel:[0,0,1] op_sel_hi:[0,1,0] neg_lo:[0,1,0] neg_hi:[0,1,0]
	v_pk_fma_f16 v178, 0xbb7b, v210, v83 op_sel:[0,0,1] op_sel_hi:[0,1,0]
	v_pk_add_f16 v174, v194, v174
	v_pk_mul_f16 v80, 0x2fb7, v80 op_sel_hi:[0,1]
	v_pk_add_f16 v78, v79, v78
	v_bfi_b32 v79, 0xffff, v88, v208
	v_pk_add_f16 v172, v173, v175
	v_pk_add_f16 v82, v82, v87
	v_alignbit_b32 v87, s0, v178, 16
	v_pk_add_f16 v86, v190, v174
	v_pk_fma_f16 v83, 0xbb7b, v210, v83 op_sel:[0,0,1] op_sel_hi:[0,1,0] neg_lo:[0,1,0] neg_hi:[0,1,0]
	v_pk_fma_f16 v89, 0x3bf1, v205, v80 op_sel:[0,0,1] op_sel_hi:[0,1,0]
	v_pk_add_f16 v78, v79, v78
	v_bfi_b32 v79, 0xffff, v85, v212
	v_pk_add_f16 v87, v87, v172
	v_pk_add_f16 v82, v83, v82
	;; [unrolled: 1-line block ×3, first 2 shown]
	v_alignbit_b32 v86, s0, v89, 16
	v_pk_fma_f16 v80, 0x3bf1, v205, v80 op_sel:[0,0,1] op_sel_hi:[0,1,0] neg_lo:[0,1,0] neg_hi:[0,1,0]
	v_fmac_f16_e32 v189, 0xbb7b, v205
	v_fmac_f16_e32 v209, 0x3770, v205
	v_pk_add_f16 v78, v79, v78
	v_bfi_b32 v79, 0xffff, v84, v206
	v_add_f16_e32 v187, v204, v187
	v_pk_add_f16 v85, v86, v87
	v_pk_add_f16 v80, v80, v82
	;; [unrolled: 1-line block ×3, first 2 shown]
	v_add_f16_e32 v182, v196, v182
	v_add_f16_e32 v189, v189, v198
	;; [unrolled: 1-line block ×3, first 2 shown]
	v_pk_add_f16 v78, v79, v78
	v_bfi_b32 v79, 0xffff, v81, v200
	v_pack_b32_f16 v83, v186, v191
	v_pack_b32_f16 v84, v187, v193
	v_alignbit_b32 v82, v82, v80, 16
	v_pack_b32_f16 v80, v85, v80
	v_pack_b32_f16 v81, v182, v179
	;; [unrolled: 1-line block ×5, first 2 shown]
	v_pk_add_f16 v78, v79, v78
	ds_write2_b32 v106, v180, v185 offset0:2 offset1:3
	ds_write2_b32 v106, v84, v83 offset0:4 offset1:5
	;; [unrolled: 1-line block ×5, first 2 shown]
	ds_write_b32 v106, v78 offset:48
	s_and_saveexec_b32 s1, vcc_lo
	s_cbranch_execz .LBB0_17
; %bb.16:
	v_mul_f16_e32 v81, 0xbbc4, v165
	v_mul_f16_e32 v86, 0x3b15, v166
	;; [unrolled: 1-line block ×5, first 2 shown]
	v_fmamk_f16 v78, v139, 0x33a8, v81
	v_fmamk_f16 v79, v138, 0xb770, v86
	v_add_f16_e32 v68, v68, v126
	v_mul_f16_e32 v184, 0x2fb7, v171
	v_mul_f16_e32 v185, 0xb9fd, v165
	v_add_f16_e32 v78, v122, v78
	v_mul_f16_e32 v188, 0x2fb7, v166
	v_add_f16_e32 v68, v69, v68
	v_fmamk_f16 v186, v147, 0xbbf1, v184
	v_fmamk_f16 v187, v139, 0x394e, v185
	v_add_f16_e32 v78, v79, v78
	v_fmamk_f16 v79, v141, 0x394e, v106
	v_add_f16_e32 v68, v72, v68
	v_mul_f16_e32 v174, 0xb3a8, v158
	v_mul_f16_e32 v189, 0x388b, v168
	;; [unrolled: 1-line block ×3, first 2 shown]
	v_add_f16_e32 v78, v79, v78
	v_fmamk_f16 v79, v143, 0xba95, v175
	v_add_f16_e32 v68, v73, v68
	v_fmamk_f16 v177, v136, 0xbbc4, v174
	v_mul_f16_e32 v191, 0xbbc4, v167
	v_fmamk_f16 v180, v137, 0x3b15, v178
	v_add_f16_e32 v78, v79, v78
	v_fmamk_f16 v79, v145, 0x3b7b, v179
	v_add_f16_e32 v68, v70, v68
	v_add_f16_e32 v177, v126, v177
	v_mul_f16_e32 v181, 0xb94e, v162
	v_mul_f16_e32 v195, 0x3b15, v170
	v_add_f16_e32 v78, v79, v78
	v_mul_f16_e32 v80, 0x3b15, v136
	v_add_f16_e32 v68, v71, v68
	v_add_f16_e32 v177, v180, v177
	v_fmamk_f16 v180, v140, 0xb9fd, v181
	v_add_f16_e32 v78, v186, v78
	v_add_f16_e32 v186, v122, v187
	v_fmamk_f16 v187, v138, 0xbbf1, v188
	v_mul_f16_e32 v183, 0x3a95, v164
	v_mul_f16_e32 v82, 0xb770, v139
	;; [unrolled: 1-line block ×3, first 2 shown]
	v_add_f16_e32 v73, v80, v148
	v_add_f16_e32 v186, v187, v186
	v_fmamk_f16 v187, v141, 0x3a95, v189
	v_add_f16_e32 v68, v74, v68
	v_add_f16_e32 v79, v180, v177
	v_fmamk_f16 v177, v142, 0x388b, v183
	v_mul_f16_e32 v180, 0xbb7b, v169
	v_add_f16_e32 v186, v187, v186
	v_fmamk_f16 v187, v143, 0xb3a8, v191
	v_mul_f16_e32 v198, 0xb5ac, v165
	v_mul_f16_e32 v84, 0xba95, v138
	v_mul_f16_e32 v85, 0x2fb7, v140
	v_sub_f16_e32 v82, v156, v82
	v_add_f16_e32 v186, v187, v186
	v_fmamk_f16 v187, v145, 0xb770, v195
	v_add_f16_e32 v70, v126, v73
	v_add_f16_e32 v73, v83, v149
	;; [unrolled: 1-line block ×5, first 2 shown]
	v_mul_f16_e32 v187, 0xb5ac, v171
	v_fmamk_f16 v177, v144, 0xb5ac, v180
	v_mul_f16_e32 v190, 0xb94e, v158
	v_fmamk_f16 v201, v139, 0x3b7b, v198
	;; [unrolled: 2-line block ×3, first 2 shown]
	v_mul_f16_e32 v88, 0xb5ac, v142
	v_add_f16_e32 v82, v122, v82
	v_sub_f16_e32 v84, v157, v84
	v_add_f16_e32 v70, v73, v70
	v_add_f16_e32 v71, v85, v150
	;; [unrolled: 1-line block ×4, first 2 shown]
	v_mul_f16_e32 v177, 0x3bf1, v163
	v_fmamk_f16 v193, v136, 0xb9fd, v190
	v_mul_f16_e32 v194, 0x3bf1, v160
	v_add_f16_e32 v186, v200, v186
	v_add_f16_e32 v200, v122, v201
	v_fmamk_f16 v201, v138, 0xb94e, v202
	v_mul_f16_e32 v203, 0x3b15, v168
	v_mul_f16_e32 v172, 0xb9fd, v144
	v_add_f16_e32 v82, v84, v82
	v_add_f16_e32 v84, v128, v122
	;; [unrolled: 1-line block ×5, first 2 shown]
	v_fmamk_f16 v192, v146, 0x2fb7, v177
	v_add_f16_e32 v193, v126, v193
	v_fmamk_f16 v196, v137, 0x2fb7, v194
	v_mul_f16_e32 v197, 0xba95, v162
	v_add_f16_e32 v200, v201, v200
	v_fmamk_f16 v201, v141, 0xb770, v203
	v_mul_f16_e32 v205, 0x2fb7, v167
	v_mul_f16_e32 v176, 0xbbc4, v146
	v_add_f16_e32 v69, v131, v84
	v_add_f16_e32 v70, v71, v70
	;; [unrolled: 1-line block ×6, first 2 shown]
	v_fmamk_f16 v193, v140, 0x388b, v197
	v_mul_f16_e32 v196, 0x33a8, v164
	v_add_f16_e32 v200, v201, v200
	v_fmamk_f16 v201, v143, 0x3bf1, v205
	v_mul_f16_e32 v209, 0xbbc4, v170
	v_add_f16_e32 v69, v130, v69
	v_add_f16_e32 v70, v71, v70
	;; [unrolled: 1-line block ×4, first 2 shown]
	v_fma_f16 v66, v136, 0xbbc4, -v174
	v_fmac_f16_e32 v185, 0xb94e, v139
	v_add_f16_e32 v192, v193, v192
	v_fmamk_f16 v193, v142, 0xbbc4, v196
	v_mul_f16_e32 v199, 0x3770, v169
	v_add_f16_e32 v200, v201, v200
	v_fmamk_f16 v201, v145, 0xb3a8, v209
	v_add_f16_e32 v69, v129, v69
	v_add_f16_e32 v67, v71, v70
	;; [unrolled: 1-line block ×3, first 2 shown]
	v_fma_f16 v71, v137, 0x3b15, -v178
	v_add_f16_e32 v74, v122, v185
	v_fmac_f16_e32 v188, 0x3bf1, v138
	v_add_f16_e32 v192, v193, v192
	v_fmamk_f16 v193, v144, 0x3b15, v199
	v_mul_f16_e32 v204, 0xbb7b, v158
	v_add_f16_e32 v200, v201, v200
	v_mul_f16_e32 v201, 0x388b, v171
	v_mul_f16_e32 v212, 0x2fb7, v165
	;; [unrolled: 1-line block ×3, first 2 shown]
	v_add_f16_e32 v69, v125, v69
	v_add_f16_e32 v66, v71, v66
	v_fma_f16 v71, v140, 0xb9fd, -v181
	v_add_f16_e32 v74, v188, v74
	v_fmac_f16_e32 v189, 0xba95, v141
	v_add_f16_e32 v192, v193, v192
	v_mul_f16_e32 v193, 0xbb7b, v163
	v_fmamk_f16 v207, v136, 0xb5ac, v204
	v_mul_f16_e32 v208, 0x394e, v160
	v_fmamk_f16 v214, v147, 0xba95, v201
	v_fmamk_f16 v215, v139, 0x3bf1, v212
	v_mul_f16_e32 v216, 0xbbc4, v166
	v_mul_f16_e32 v89, 0xbb7b, v143
	v_sub_f16_e32 v87, v152, v87
	v_add_f16_e32 v69, v127, v69
	v_fmac_f16_e32 v81, 0xb3a8, v139
	v_add_f16_e32 v66, v71, v66
	v_fma_f16 v71, v142, 0x388b, -v183
	v_add_f16_e32 v74, v189, v74
	v_fmac_f16_e32 v191, 0x33a8, v143
	v_fmamk_f16 v206, v146, 0xb5ac, v193
	v_add_f16_e32 v207, v126, v207
	v_fmamk_f16 v210, v137, 0xb9fd, v208
	v_mul_f16_e32 v211, 0x3770, v162
	v_add_f16_e32 v200, v214, v200
	v_add_f16_e32 v214, v122, v215
	v_fmamk_f16 v215, v138, 0x33a8, v216
	v_mul_f16_e32 v217, 0xb5ac, v168
	v_mul_f16_e32 v173, 0xb94e, v145
	v_add_f16_e32 v82, v87, v82
	v_sub_f16_e32 v84, v154, v89
	v_add_f16_e32 v69, v135, v69
	v_add_f16_e32 v73, v122, v81
	v_fmac_f16_e32 v86, 0x3770, v138
	v_add_f16_e32 v66, v71, v66
	v_fma_f16 v71, v144, 0xb5ac, -v180
	v_add_f16_e32 v74, v191, v74
	v_fmac_f16_e32 v195, 0x3770, v145
	v_add_f16_e32 v192, v206, v192
	v_add_f16_e32 v206, v210, v207
	v_fmamk_f16 v207, v140, 0x3b15, v211
	v_mul_f16_e32 v210, 0xbbf1, v164
	v_add_f16_e32 v214, v215, v214
	v_fmamk_f16 v215, v141, 0xbb7b, v217
	v_mul_f16_e32 v219, 0x3b15, v167
	v_mul_f16_e32 v182, 0xb3a8, v147
	v_add_f16_e32 v82, v84, v82
	v_sub_f16_e32 v84, v159, v173
	v_add_f16_e32 v69, v133, v69
	v_add_f16_e32 v73, v86, v73
	v_fmac_f16_e32 v106, 0xb94e, v141
	v_add_f16_e32 v66, v71, v66
	v_fma_f16 v71, v146, 0x2fb7, -v177
	v_add_f16_e32 v74, v195, v74
	v_fmac_f16_e32 v187, 0xbb7b, v147
	v_add_f16_e32 v206, v207, v206
	v_fmamk_f16 v207, v142, 0x2fb7, v210
	v_mul_f16_e32 v213, 0x33a8, v169
	v_add_f16_e32 v214, v215, v214
	v_fmamk_f16 v215, v143, 0xb770, v219
	v_mul_f16_e32 v223, 0x388b, v170
	v_add_f16_e32 v80, v84, v82
	v_sub_f16_e32 v82, v161, v182
	v_add_f16_e32 v69, v134, v69
	v_add_f16_e32 v73, v106, v73
	v_fmac_f16_e32 v175, 0x3a95, v143
	v_add_f16_e32 v66, v71, v66
	v_add_f16_e32 v71, v187, v74
	v_fma_f16 v74, v136, 0xb5ac, -v204
	v_fmac_f16_e32 v212, 0xbbf1, v139
	v_add_f16_e32 v206, v207, v206
	v_fmamk_f16 v207, v144, 0xbbc4, v213
	v_mul_f16_e32 v218, 0xbbf1, v158
	v_add_f16_e32 v214, v215, v214
	v_fmamk_f16 v215, v145, 0x3a95, v223
	v_fma_f16 v70, v136, 0xb9fd, -v190
	v_add_f16_e32 v68, v124, v69
	v_add_f16_e32 v69, v175, v73
	;; [unrolled: 1-line block ×4, first 2 shown]
	v_fma_f16 v76, v137, 0xb9fd, -v208
	v_add_f16_e32 v80, v122, v212
	v_fmac_f16_e32 v216, 0xb3a8, v138
	v_add_f16_e32 v206, v207, v206
	v_mul_f16_e32 v207, 0x3a95, v163
	v_fmamk_f16 v221, v136, 0x2fb7, v218
	v_mul_f16_e32 v222, 0xb3a8, v160
	v_add_f16_e32 v214, v215, v214
	v_mul_f16_e32 v215, 0xb9fd, v171
	v_mul_f16_e32 v165, 0x388b, v165
	v_add_f16_e32 v70, v126, v70
	v_fma_f16 v75, v137, 0x2fb7, -v194
	v_add_f16_e32 v74, v76, v74
	v_fma_f16 v76, v140, 0x3b15, -v211
	v_add_f16_e32 v80, v216, v80
	v_fmac_f16_e32 v217, 0x3b7b, v141
	v_fmamk_f16 v220, v146, 0x388b, v207
	v_add_f16_e32 v221, v126, v221
	v_fmamk_f16 v224, v137, 0xbbc4, v222
	v_mul_f16_e32 v225, 0x3b7b, v162
	v_fmamk_f16 v227, v147, 0x394e, v215
	v_fmamk_f16 v228, v139, 0x3a95, v165
	v_mul_f16_e32 v166, 0xb5ac, v166
	v_add_f16_e32 v70, v75, v70
	v_fma_f16 v75, v140, 0x388b, -v197
	v_add_f16_e32 v74, v76, v74
	v_fma_f16 v76, v142, 0x2fb7, -v210
	v_add_f16_e32 v80, v217, v80
	v_fmac_f16_e32 v219, 0x3770, v143
	v_add_f16_e32 v206, v220, v206
	v_add_f16_e32 v220, v224, v221
	v_fmamk_f16 v221, v140, 0xb5ac, v225
	v_mul_f16_e32 v224, 0x3770, v164
	v_add_f16_e32 v214, v227, v214
	v_add_f16_e32 v227, v122, v228
	v_fmamk_f16 v228, v138, 0x3b7b, v166
	v_mul_f16_e32 v168, 0xbbc4, v168
	v_mul_f16_e32 v158, 0xba95, v158
	v_add_f16_e32 v70, v75, v70
	v_fma_f16 v75, v142, 0xbbc4, -v196
	v_add_f16_e32 v74, v76, v74
	v_fma_f16 v76, v144, 0xbbc4, -v213
	v_add_f16_e32 v80, v219, v80
	v_fmac_f16_e32 v223, 0xba95, v145
	v_add_f16_e32 v220, v221, v220
	v_fmamk_f16 v221, v142, 0x3b15, v224
	v_mul_f16_e32 v226, 0xba95, v169
	v_add_f16_e32 v227, v228, v227
	v_fmamk_f16 v228, v141, 0x33a8, v168
	v_mul_f16_e32 v167, 0xb9fd, v167
	v_fmamk_f16 v230, v136, 0x388b, v158
	v_mul_f16_e32 v160, 0xbb7b, v160
	v_add_f16_e32 v70, v75, v70
	v_fma_f16 v75, v144, 0x3b15, -v199
	v_add_f16_e32 v74, v76, v74
	v_fma_f16 v76, v146, 0x388b, -v207
	v_add_f16_e32 v80, v223, v80
	v_fmac_f16_e32 v215, 0xb94e, v147
	v_add_f16_e32 v220, v221, v220
	v_fmamk_f16 v221, v144, 0x388b, v226
	v_add_f16_e32 v227, v228, v227
	v_fmamk_f16 v228, v143, 0xb94e, v167
	v_mul_f16_e32 v170, 0x2fb7, v170
	v_add_f16_e32 v230, v126, v230
	v_fmamk_f16 v231, v137, 0xb5ac, v160
	v_mul_f16_e32 v162, 0xb3a8, v162
	v_add_f16_e32 v70, v75, v70
	v_fma_f16 v75, v146, 0xb5ac, -v193
	v_fmac_f16_e32 v198, 0xbb7b, v139
	v_fma_f16 v81, v136, 0x2fb7, -v218
	v_add_f16_e32 v74, v76, v74
	v_fmac_f16_e32 v165, 0xba95, v139
	v_add_f16_e32 v76, v215, v80
	v_fma_f16 v80, v136, 0x388b, -v158
	v_add_f16_e32 v220, v221, v220
	v_mul_f16_e32 v221, 0xb94e, v163
	v_add_f16_e32 v227, v228, v227
	v_fmamk_f16 v228, v145, 0xbbf1, v170
	v_add_f16_e32 v230, v231, v230
	v_fmamk_f16 v231, v140, 0xbbc4, v162
	v_mul_f16_e32 v164, 0x394e, v164
	v_add_f16_e32 v70, v75, v70
	v_add_f16_e32 v75, v122, v198
	v_fmac_f16_e32 v202, 0x394e, v138
	v_add_f16_e32 v81, v126, v81
	v_fma_f16 v82, v137, 0xbbc4, -v222
	v_add_f16_e32 v83, v122, v165
	v_fmac_f16_e32 v166, 0xbb7b, v138
	v_add_f16_e32 v80, v126, v80
	v_fma_f16 v84, v137, 0xb5ac, -v160
	v_fmamk_f16 v229, v146, 0xb9fd, v221
	v_add_f16_e32 v156, v228, v227
	v_add_f16_e32 v228, v231, v230
	v_fmamk_f16 v230, v142, 0xb9fd, v164
	v_mul_f16_e32 v169, 0x3bf1, v169
	v_add_f16_e32 v75, v202, v75
	v_fmac_f16_e32 v203, 0x3770, v141
	v_add_f16_e32 v81, v82, v81
	v_fma_f16 v82, v140, 0xb5ac, -v225
	v_add_f16_e32 v83, v166, v83
	v_fmac_f16_e32 v168, 0xb3a8, v141
	v_add_f16_e32 v80, v84, v80
	v_fma_f16 v84, v140, 0xbbc4, -v162
	v_mul_f16_e32 v171, 0x3b15, v171
	v_add_f16_e32 v157, v229, v220
	v_add_f16_e32 v220, v230, v228
	v_fmamk_f16 v128, v144, 0x2fb7, v169
	v_mul_f16_e32 v152, 0x3770, v163
	v_add_f16_e32 v75, v203, v75
	v_fmac_f16_e32 v205, 0xbbf1, v143
	v_add_f16_e32 v81, v82, v81
	v_fma_f16 v82, v142, 0x3b15, -v224
	v_add_f16_e32 v83, v168, v83
	v_fmac_f16_e32 v167, 0x394e, v143
	v_add_f16_e32 v80, v84, v80
	v_fma_f16 v84, v142, 0xb9fd, -v164
	v_add_f16_e32 v68, v132, v68
	v_fmamk_f16 v227, v147, 0xb770, v171
	v_add_f16_e32 v87, v128, v220
	v_fmamk_f16 v72, v146, 0x3b15, v152
	v_fmac_f16_e32 v179, 0xbb7b, v145
	v_add_f16_e32 v75, v205, v75
	v_fmac_f16_e32 v209, 0x33a8, v145
	v_add_f16_e32 v81, v82, v81
	v_fma_f16 v82, v144, 0x388b, -v226
	v_add_f16_e32 v83, v167, v83
	v_fmac_f16_e32 v170, 0x3bf1, v145
	v_add_f16_e32 v80, v84, v80
	v_fma_f16 v84, v144, 0x2fb7, -v169
	v_add_f16_e32 v68, v121, v68
	v_add_f16_e32 v156, v227, v156
	;; [unrolled: 1-line block ×4, first 2 shown]
	v_fmac_f16_e32 v184, 0x3bf1, v147
	v_add_f16_e32 v75, v209, v75
	v_fmac_f16_e32 v201, 0x3a95, v147
	v_add_f16_e32 v81, v82, v81
	v_fma_f16 v82, v146, 0xb9fd, -v221
	v_add_f16_e32 v83, v170, v83
	v_fmac_f16_e32 v171, 0x3770, v147
	v_add_f16_e32 v80, v84, v80
	v_fma_f16 v84, v146, 0x3b15, -v152
	v_lshl_add_u32 v85, v105, 2, v104
	v_pack_b32_f16 v67, v67, v73
	v_pack_b32_f16 v65, v65, v68
	v_add_f16_e32 v69, v184, v69
	v_pack_b32_f16 v68, v157, v214
	v_pack_b32_f16 v72, v72, v156
	v_add_f16_e32 v75, v201, v75
	v_add_f16_e32 v73, v82, v81
	;; [unrolled: 1-line block ×4, first 2 shown]
	ds_write2_b32 v85, v65, v67 offset1:1
	ds_write2_b32 v85, v72, v68 offset0:2 offset1:3
	v_pack_b32_f16 v65, v192, v186
	v_pack_b32_f16 v67, v206, v200
	;; [unrolled: 1-line block ×8, first 2 shown]
	v_perm_b32 v73, v123, v77, 0x5040100
	ds_write2_b32 v85, v67, v65 offset0:4 offset1:5
	ds_write2_b32 v85, v68, v66 offset0:6 offset1:7
	;; [unrolled: 1-line block ×4, first 2 shown]
	ds_write_b32 v85, v73 offset:48
.LBB0_17:
	s_or_b32 exec_lo, exec_lo, s1
	s_waitcnt lgkmcnt(0)
	s_barrier
	buffer_gl0_inv
	ds_read2_b32 v[67:68], v90 offset1:39
	ds_read2_b32 v[65:66], v90 offset0:156 offset1:195
	v_add_nc_u32_e32 v74, 0x400, v90
	v_add_nc_u32_e32 v71, 0x800, v90
	;; [unrolled: 1-line block ×4, first 2 shown]
	ds_read2_b32 v[81:82], v74 offset0:134 offset1:173
	ds_read2_b32 v[83:84], v71 offset0:34 offset1:73
	;; [unrolled: 1-line block ×10, first 2 shown]
	ds_read_b32 v89, v90 offset:3744
	s_waitcnt lgkmcnt(0)
	s_barrier
	buffer_gl0_inv
	v_lshrrev_b32_e32 v131, 16, v81
	v_lshrrev_b32_e32 v132, 16, v84
	;; [unrolled: 1-line block ×6, first 2 shown]
	v_mul_f16_sdwa v151, v13, v131 dst_sel:DWORD dst_unused:UNUSED_PAD src0_sel:WORD_1 src1_sel:DWORD
	v_mul_f16_sdwa v152, v13, v81 dst_sel:DWORD dst_unused:UNUSED_PAD src0_sel:WORD_1 src1_sel:DWORD
	;; [unrolled: 1-line block ×4, first 2 shown]
	v_lshrrev_b32_e32 v136, 16, v105
	v_mul_f16_sdwa v154, v14, v84 dst_sel:DWORD dst_unused:UNUSED_PAD src0_sel:WORD_1 src1_sel:DWORD
	v_fmac_f16_e32 v151, v13, v81
	v_fma_f16 v13, v13, v131, -v152
	v_fmac_f16_e32 v146, v12, v66
	v_mul_f16_sdwa v66, v12, v66 dst_sel:DWORD dst_unused:UNUSED_PAD src0_sel:WORD_1 src1_sel:DWORD
	v_fmac_f16_e32 v153, v14, v84
	v_mul_f16_sdwa v81, v15, v85 dst_sel:DWORD dst_unused:UNUSED_PAD src0_sel:WORD_1 src1_sel:DWORD
	v_mul_f16_sdwa v84, v4, v134 dst_sel:DWORD dst_unused:UNUSED_PAD src0_sel:WORD_1 src1_sel:DWORD
	;; [unrolled: 1-line block ×3, first 2 shown]
	v_fma_f16 v12, v12, v130, -v66
	v_mul_f16_sdwa v66, v15, v133 dst_sel:DWORD dst_unused:UNUSED_PAD src0_sel:WORD_1 src1_sel:DWORD
	v_mul_f16_sdwa v130, v4, v87 dst_sel:DWORD dst_unused:UNUSED_PAD src0_sel:WORD_1 src1_sel:DWORD
	v_lshrrev_b32_e32 v137, 16, v86
	v_lshrrev_b32_e32 v138, 16, v88
	v_fmac_f16_e32 v84, v4, v87
	v_fmac_f16_e32 v66, v15, v85
	v_fma_f16 v15, v15, v133, -v81
	v_fma_f16 v81, v4, v134, -v130
	v_fmac_f16_e32 v131, v5, v82
	v_mul_f16_sdwa v4, v5, v82 dst_sel:DWORD dst_unused:UNUSED_PAD src0_sel:WORD_1 src1_sel:DWORD
	v_mul_f16_sdwa v82, v6, v136 dst_sel:DWORD dst_unused:UNUSED_PAD src0_sel:WORD_1 src1_sel:DWORD
	v_lshrrev_b32_e32 v139, 16, v121
	v_lshrrev_b32_e32 v140, 16, v106
	;; [unrolled: 1-line block ×3, first 2 shown]
	v_fma_f16 v14, v14, v132, -v154
	v_mul_f16_sdwa v85, v6, v105 dst_sel:DWORD dst_unused:UNUSED_PAD src0_sel:WORD_1 src1_sel:DWORD
	v_mul_f16_sdwa v87, v7, v137 dst_sel:DWORD dst_unused:UNUSED_PAD src0_sel:WORD_1 src1_sel:DWORD
	;; [unrolled: 1-line block ×3, first 2 shown]
	v_fma_f16 v132, v5, v135, -v4
	v_fmac_f16_e32 v82, v6, v105
	v_mul_f16_sdwa v105, v16, v138 dst_sel:DWORD dst_unused:UNUSED_PAD src0_sel:WORD_1 src1_sel:DWORD
	v_mul_f16_sdwa v4, v16, v88 dst_sel:DWORD dst_unused:UNUSED_PAD src0_sel:WORD_1 src1_sel:DWORD
	v_lshrrev_b32_e32 v142, 16, v126
	v_lshrrev_b32_e32 v143, 16, v122
	v_fmac_f16_e32 v87, v7, v86
	v_fma_f16 v86, v7, v137, -v130
	v_mul_f16_sdwa v130, v17, v139 dst_sel:DWORD dst_unused:UNUSED_PAD src0_sel:WORD_1 src1_sel:DWORD
	v_mul_f16_sdwa v5, v17, v121 dst_sel:DWORD dst_unused:UNUSED_PAD src0_sel:WORD_1 src1_sel:DWORD
	;; [unrolled: 1-line block ×3, first 2 shown]
	v_fmac_f16_e32 v105, v16, v88
	v_fma_f16 v16, v16, v138, -v4
	v_mul_f16_sdwa v4, v18, v106 dst_sel:DWORD dst_unused:UNUSED_PAD src0_sel:WORD_1 src1_sel:DWORD
	v_mul_f16_sdwa v88, v19, v141 dst_sel:DWORD dst_unused:UNUSED_PAD src0_sel:WORD_1 src1_sel:DWORD
	v_lshrrev_b32_e32 v144, 16, v128
	v_lshrrev_b32_e32 v145, 16, v125
	;; [unrolled: 1-line block ×3, first 2 shown]
	v_fma_f16 v85, v6, v136, -v85
	v_fmac_f16_e32 v130, v17, v121
	v_fma_f16 v17, v17, v139, -v5
	v_fmac_f16_e32 v133, v18, v106
	v_mul_f16_sdwa v5, v19, v124 dst_sel:DWORD dst_unused:UNUSED_PAD src0_sel:WORD_1 src1_sel:DWORD
	v_mul_f16_sdwa v106, v8, v142 dst_sel:DWORD dst_unused:UNUSED_PAD src0_sel:WORD_1 src1_sel:DWORD
	;; [unrolled: 1-line block ×3, first 2 shown]
	v_fma_f16 v18, v18, v140, -v4
	v_fmac_f16_e32 v88, v19, v124
	v_mul_f16_sdwa v124, v9, v143 dst_sel:DWORD dst_unused:UNUSED_PAD src0_sel:WORD_1 src1_sel:DWORD
	v_mul_f16_sdwa v4, v9, v122 dst_sel:DWORD dst_unused:UNUSED_PAD src0_sel:WORD_1 src1_sel:DWORD
	v_lshrrev_b32_e32 v148, 16, v83
	v_fma_f16 v19, v19, v141, -v5
	v_fmac_f16_e32 v106, v8, v126
	v_fma_f16 v121, v8, v142, -v6
	v_mul_f16_sdwa v126, v10, v144 dst_sel:DWORD dst_unused:UNUSED_PAD src0_sel:WORD_1 src1_sel:DWORD
	v_mul_f16_sdwa v5, v10, v128 dst_sel:DWORD dst_unused:UNUSED_PAD src0_sel:WORD_1 src1_sel:DWORD
	;; [unrolled: 1-line block ×3, first 2 shown]
	v_fmac_f16_e32 v124, v9, v122
	v_fma_f16 v122, v9, v143, -v4
	v_mul_f16_sdwa v4, v11, v125 dst_sel:DWORD dst_unused:UNUSED_PAD src0_sel:WORD_1 src1_sel:DWORD
	v_mul_f16_sdwa v7, v0, v147 dst_sel:DWORD dst_unused:UNUSED_PAD src0_sel:WORD_1 src1_sel:DWORD
	;; [unrolled: 1-line block ×3, first 2 shown]
	v_lshrrev_b32_e32 v149, 16, v129
	v_lshrrev_b32_e32 v150, 16, v89
	v_fmac_f16_e32 v126, v10, v128
	v_fma_f16 v128, v10, v144, -v5
	v_fmac_f16_e32 v134, v11, v125
	v_mul_f16_sdwa v5, v1, v148 dst_sel:DWORD dst_unused:UNUSED_PAD src0_sel:WORD_1 src1_sel:DWORD
	v_mul_f16_sdwa v8, v1, v83 dst_sel:DWORD dst_unused:UNUSED_PAD src0_sel:WORD_1 src1_sel:DWORD
	v_fma_f16 v125, v11, v145, -v4
	v_fmac_f16_e32 v7, v0, v127
	v_fma_f16 v4, v0, v147, -v6
	v_add_f16_e32 v0, v151, v153
	v_mul_f16_sdwa v6, v2, v129 dst_sel:DWORD dst_unused:UNUSED_PAD src0_sel:WORD_1 src1_sel:DWORD
	v_add_f16_e32 v9, v67, v146
	v_fmac_f16_e32 v5, v1, v83
	v_fma_f16 v1, v1, v148, -v8
	v_mul_f16_sdwa v10, v2, v149 dst_sel:DWORD dst_unused:UNUSED_PAD src0_sel:WORD_1 src1_sel:DWORD
	v_mul_f16_sdwa v83, v3, v150 dst_sel:DWORD dst_unused:UNUSED_PAD src0_sel:WORD_1 src1_sel:DWORD
	v_fma_f16 v0, -0.5, v0, v67
	v_sub_f16_e32 v127, v12, v15
	v_fma_f16 v8, v2, v149, -v6
	v_add_f16_e32 v6, v9, v151
	v_lshrrev_b32_e32 v80, 16, v67
	v_fmac_f16_e32 v10, v2, v129
	v_fmac_f16_e32 v83, v3, v89
	v_fmamk_f16 v2, v127, 0xbb9c, v0
	v_sub_f16_e32 v129, v13, v14
	v_sub_f16_e32 v9, v146, v151
	;; [unrolled: 1-line block ×3, first 2 shown]
	v_add_f16_e32 v135, v146, v66
	v_mul_f16_sdwa v89, v3, v89 dst_sel:DWORD dst_unused:UNUSED_PAD src0_sel:WORD_1 src1_sel:DWORD
	v_add_f16_e32 v136, v6, v153
	v_fmac_f16_e32 v0, 0x3b9c, v127
	v_fmac_f16_e32 v2, 0xb8b4, v129
	v_add_f16_e32 v137, v9, v11
	v_fma_f16 v6, -0.5, v135, v67
	v_fma_f16 v11, v3, v150, -v89
	v_add_f16_e32 v3, v136, v66
	v_sub_f16_e32 v67, v151, v146
	v_sub_f16_e32 v89, v153, v66
	v_fmac_f16_e32 v0, 0x38b4, v129
	v_add_f16_e32 v135, v80, v12
	v_add_f16_e32 v136, v13, v14
	v_fmac_f16_e32 v2, 0x34f2, v137
	v_fmamk_f16 v9, v129, 0x3b9c, v6
	v_add_f16_e32 v67, v67, v89
	v_fmac_f16_e32 v6, 0xbb9c, v129
	v_add_f16_e32 v89, v135, v13
	v_fma_f16 v129, -0.5, v136, v80
	v_sub_f16_e32 v66, v146, v66
	v_fmac_f16_e32 v0, 0x34f2, v137
	v_add_f16_e32 v135, v12, v15
	v_sub_f16_e32 v137, v12, v13
	v_sub_f16_e32 v12, v13, v12
	;; [unrolled: 1-line block ×3, first 2 shown]
	v_fmac_f16_e32 v9, 0xb8b4, v127
	v_fmac_f16_e32 v6, 0x38b4, v127
	v_add_f16_e32 v89, v89, v14
	v_fmamk_f16 v127, v66, 0x3b9c, v129
	v_sub_f16_e32 v136, v151, v153
	v_sub_f16_e32 v138, v15, v14
	v_fmac_f16_e32 v80, -0.5, v135
	v_fmac_f16_e32 v129, 0xbb9c, v66
	v_add_f16_e32 v14, v131, v82
	v_add_f16_e32 v12, v12, v13
	;; [unrolled: 1-line block ×3, first 2 shown]
	v_lshrrev_b32_e32 v79, 16, v68
	v_fmac_f16_e32 v9, 0x34f2, v67
	v_fmac_f16_e32 v6, 0x34f2, v67
	v_add_f16_e32 v67, v89, v15
	v_fmac_f16_e32 v127, 0x38b4, v136
	v_add_f16_e32 v89, v137, v138
	v_fmamk_f16 v135, v136, 0xbb9c, v80
	v_fmac_f16_e32 v129, 0xb8b4, v136
	v_fma_f16 v14, -0.5, v14, v68
	v_sub_f16_e32 v15, v81, v86
	v_fmac_f16_e32 v80, 0x3b9c, v136
	v_add_f16_e32 v13, v13, v131
	v_add_f16_e32 v139, v84, v87
	v_fmac_f16_e32 v127, 0x34f2, v89
	v_fmac_f16_e32 v135, 0x38b4, v66
	;; [unrolled: 1-line block ×3, first 2 shown]
	v_fmamk_f16 v89, v15, 0xbb9c, v14
	v_sub_f16_e32 v136, v132, v85
	v_sub_f16_e32 v137, v84, v131
	;; [unrolled: 1-line block ×3, first 2 shown]
	v_fmac_f16_e32 v80, 0xb8b4, v66
	v_add_f16_e32 v13, v13, v82
	v_fmac_f16_e32 v68, -0.5, v139
	v_fmac_f16_e32 v14, 0x3b9c, v15
	v_add_f16_e32 v139, v79, v81
	v_fmac_f16_e32 v135, 0x34f2, v12
	v_fmac_f16_e32 v89, 0xb8b4, v136
	v_add_f16_e32 v66, v137, v138
	v_fmac_f16_e32 v80, 0x34f2, v12
	v_add_f16_e32 v12, v13, v87
	v_fmamk_f16 v13, v136, 0x3b9c, v68
	v_sub_f16_e32 v137, v131, v84
	v_sub_f16_e32 v138, v82, v87
	v_fmac_f16_e32 v14, 0x38b4, v136
	v_add_f16_e32 v140, v132, v85
	v_fmac_f16_e32 v68, 0xbb9c, v136
	v_add_f16_e32 v136, v139, v132
	;; [unrolled: 2-line block ×3, first 2 shown]
	v_fma_f16 v138, -0.5, v140, v79
	v_sub_f16_e32 v84, v84, v87
	v_fmac_f16_e32 v68, 0x38b4, v15
	v_add_f16_e32 v15, v136, v85
	v_add_f16_e32 v87, v81, v86
	v_sub_f16_e32 v82, v131, v82
	v_sub_f16_e32 v131, v81, v132
	;; [unrolled: 1-line block ×5, first 2 shown]
	v_fmac_f16_e32 v89, 0x34f2, v66
	v_fmac_f16_e32 v14, 0x34f2, v66
	v_fmamk_f16 v66, v84, 0x3b9c, v138
	v_fmac_f16_e32 v79, -0.5, v87
	v_fmac_f16_e32 v138, 0xbb9c, v84
	v_add_f16_e32 v81, v81, v85
	v_add_f16_e32 v85, v69, v105
	;; [unrolled: 1-line block ×3, first 2 shown]
	v_fmac_f16_e32 v66, 0x38b4, v82
	v_add_f16_e32 v87, v131, v136
	v_fmamk_f16 v131, v82, 0xbb9c, v79
	v_add_f16_e32 v86, v130, v133
	v_fmac_f16_e32 v138, 0xb8b4, v82
	v_fmac_f16_e32 v79, 0x3b9c, v82
	v_add_f16_e32 v82, v85, v130
	v_add_f16_e32 v139, v105, v88
	v_lshrrev_b32_e32 v78, 16, v69
	v_fmac_f16_e32 v13, 0x34f2, v137
	v_fmac_f16_e32 v68, 0x34f2, v137
	;; [unrolled: 1-line block ×4, first 2 shown]
	v_fma_f16 v86, -0.5, v86, v69
	v_sub_f16_e32 v132, v16, v19
	v_fmac_f16_e32 v138, 0x34f2, v87
	v_sub_f16_e32 v87, v17, v18
	v_sub_f16_e32 v136, v105, v130
	;; [unrolled: 1-line block ×3, first 2 shown]
	v_fmac_f16_e32 v79, 0xb8b4, v84
	v_add_f16_e32 v82, v82, v133
	v_fma_f16 v69, -0.5, v139, v69
	v_fmac_f16_e32 v131, 0x34f2, v81
	v_fmamk_f16 v85, v132, 0xbb9c, v86
	v_add_f16_e32 v84, v136, v137
	v_fmac_f16_e32 v79, 0x34f2, v81
	v_add_f16_e32 v136, v82, v88
	v_fmac_f16_e32 v86, 0x3b9c, v132
	v_fmamk_f16 v137, v87, 0x3b9c, v69
	v_sub_f16_e32 v81, v130, v105
	v_sub_f16_e32 v82, v133, v88
	v_add_f16_e32 v139, v78, v16
	v_add_f16_e32 v140, v17, v18
	v_fmac_f16_e32 v69, 0xbb9c, v87
	v_fmac_f16_e32 v85, 0xb8b4, v87
	;; [unrolled: 1-line block ×4, first 2 shown]
	v_add_f16_e32 v81, v81, v82
	v_add_f16_e32 v82, v139, v17
	v_fma_f16 v87, -0.5, v140, v78
	v_sub_f16_e32 v88, v105, v88
	v_fmac_f16_e32 v69, 0x38b4, v132
	v_add_f16_e32 v105, v16, v19
	v_sub_f16_e32 v132, v16, v17
	v_sub_f16_e32 v16, v17, v16
	;; [unrolled: 1-line block ×3, first 2 shown]
	v_fmac_f16_e32 v85, 0x34f2, v84
	v_fmac_f16_e32 v86, 0x34f2, v84
	v_add_f16_e32 v82, v82, v18
	v_fmamk_f16 v84, v88, 0x3b9c, v87
	v_sub_f16_e32 v130, v130, v133
	v_sub_f16_e32 v133, v19, v18
	v_fmac_f16_e32 v78, -0.5, v105
	v_fmac_f16_e32 v87, 0xbb9c, v88
	v_add_f16_e32 v18, v124, v126
	v_add_f16_e32 v16, v16, v17
	;; [unrolled: 1-line block ×3, first 2 shown]
	v_lshrrev_b32_e32 v76, 16, v70
	v_fmac_f16_e32 v137, 0x34f2, v81
	v_fmac_f16_e32 v69, 0x34f2, v81
	v_add_f16_e32 v105, v82, v19
	v_fmac_f16_e32 v84, 0x38b4, v130
	v_add_f16_e32 v81, v132, v133
	v_fmamk_f16 v132, v130, 0xbb9c, v78
	v_fmac_f16_e32 v87, 0xb8b4, v130
	v_fma_f16 v18, -0.5, v18, v70
	v_sub_f16_e32 v19, v121, v125
	v_fmac_f16_e32 v78, 0x3b9c, v130
	v_add_f16_e32 v17, v17, v124
	v_add_f16_e32 v139, v106, v134
	v_fmac_f16_e32 v84, 0x34f2, v81
	v_fmac_f16_e32 v132, 0x38b4, v88
	;; [unrolled: 1-line block ×3, first 2 shown]
	v_fmamk_f16 v130, v19, 0xbb9c, v18
	v_sub_f16_e32 v81, v122, v128
	v_sub_f16_e32 v82, v106, v124
	;; [unrolled: 1-line block ×3, first 2 shown]
	v_fmac_f16_e32 v78, 0xb8b4, v88
	v_add_f16_e32 v17, v17, v126
	v_fmac_f16_e32 v70, -0.5, v139
	v_fmac_f16_e32 v18, 0x3b9c, v19
	v_add_f16_e32 v139, v76, v121
	v_fmac_f16_e32 v132, 0x34f2, v16
	v_fmac_f16_e32 v130, 0xb8b4, v81
	v_add_f16_e32 v82, v82, v133
	v_fmac_f16_e32 v78, 0x34f2, v16
	v_add_f16_e32 v16, v17, v134
	v_fmamk_f16 v17, v81, 0x3b9c, v70
	v_sub_f16_e32 v88, v124, v106
	v_sub_f16_e32 v133, v126, v134
	v_fmac_f16_e32 v18, 0x38b4, v81
	v_add_f16_e32 v140, v122, v128
	v_fmac_f16_e32 v70, 0xbb9c, v81
	v_add_f16_e32 v81, v139, v122
	;; [unrolled: 2-line block ×3, first 2 shown]
	v_fma_f16 v133, -0.5, v140, v76
	v_sub_f16_e32 v106, v106, v134
	v_fmac_f16_e32 v70, 0x38b4, v19
	v_add_f16_e32 v19, v81, v128
	v_add_f16_e32 v81, v121, v125
	v_fmac_f16_e32 v130, 0x34f2, v82
	v_fmac_f16_e32 v18, 0x34f2, v82
	v_fmamk_f16 v134, v106, 0x3b9c, v133
	v_sub_f16_e32 v82, v124, v126
	v_sub_f16_e32 v124, v121, v122
	;; [unrolled: 1-line block ×3, first 2 shown]
	v_fmac_f16_e32 v76, -0.5, v81
	v_fmac_f16_e32 v133, 0xbb9c, v106
	v_sub_f16_e32 v81, v122, v121
	v_sub_f16_e32 v121, v128, v125
	v_add_f16_e32 v122, v5, v10
	v_fmac_f16_e32 v17, 0x34f2, v88
	v_fmac_f16_e32 v70, 0x34f2, v88
	v_fmac_f16_e32 v134, 0x38b4, v82
	v_add_f16_e32 v88, v124, v126
	v_fmamk_f16 v124, v82, 0xbb9c, v76
	v_fmac_f16_e32 v133, 0xb8b4, v82
	v_add_f16_e32 v121, v81, v121
	v_fmac_f16_e32 v76, 0x3b9c, v82
	v_add_f16_e32 v82, v65, v7
	v_fma_f16 v81, -0.5, v122, v65
	v_sub_f16_e32 v122, v4, v11
	v_add_f16_e32 v19, v19, v125
	v_fmac_f16_e32 v134, 0x34f2, v88
	v_fmac_f16_e32 v124, 0x38b4, v106
	v_fmac_f16_e32 v133, 0x34f2, v88
	v_fmac_f16_e32 v76, 0xb8b4, v106
	v_add_f16_e32 v82, v82, v5
	v_fmamk_f16 v88, v122, 0xbb9c, v81
	v_sub_f16_e32 v106, v1, v8
	v_sub_f16_e32 v125, v7, v5
	;; [unrolled: 1-line block ×3, first 2 shown]
	v_fmac_f16_e32 v81, 0x3b9c, v122
	v_add_f16_e32 v128, v7, v83
	v_lshrrev_b32_e32 v75, 16, v65
	v_add_f16_e32 v82, v82, v10
	v_fmac_f16_e32 v88, 0xb8b4, v106
	v_add_f16_e32 v125, v125, v126
	v_fmac_f16_e32 v81, 0x38b4, v106
	v_fmac_f16_e32 v65, -0.5, v128
	v_sub_f16_e32 v126, v5, v7
	v_sub_f16_e32 v128, v10, v83
	v_fmac_f16_e32 v124, 0x34f2, v121
	v_fmac_f16_e32 v76, 0x34f2, v121
	v_add_f16_e32 v121, v82, v83
	v_fmac_f16_e32 v88, 0x34f2, v125
	v_fmac_f16_e32 v81, 0x34f2, v125
	v_fmamk_f16 v125, v106, 0x3b9c, v65
	v_add_f16_e32 v82, v1, v8
	v_fmac_f16_e32 v65, 0xbb9c, v106
	v_sub_f16_e32 v7, v7, v83
	v_add_f16_e32 v83, v126, v128
	v_add_f16_e32 v126, v4, v11
	;; [unrolled: 1-line block ×3, first 2 shown]
	v_fma_f16 v82, -0.5, v82, v75
	v_fmac_f16_e32 v125, 0xb8b4, v122
	v_fmac_f16_e32 v65, 0x38b4, v122
	v_sub_f16_e32 v5, v5, v10
	v_fmac_f16_e32 v75, -0.5, v126
	v_add_f16_e32 v106, v106, v1
	v_fmac_f16_e32 v125, 0x34f2, v83
	v_fmac_f16_e32 v65, 0x34f2, v83
	v_sub_f16_e32 v83, v4, v1
	v_fmamk_f16 v126, v5, 0xbb9c, v75
	v_sub_f16_e32 v1, v1, v4
	v_sub_f16_e32 v4, v8, v11
	v_fmac_f16_e32 v75, 0x3b9c, v5
	v_fmamk_f16 v122, v7, 0x3b9c, v82
	v_add_f16_e32 v10, v106, v8
	v_sub_f16_e32 v106, v11, v8
	v_fmac_f16_e32 v82, 0xbb9c, v7
	v_fmac_f16_e32 v126, 0x38b4, v7
	v_add_f16_e32 v1, v1, v4
	v_fmac_f16_e32 v75, 0xb8b4, v7
	v_fmac_f16_e32 v122, 0x38b4, v5
	v_add_f16_e32 v8, v83, v106
	v_fmac_f16_e32 v82, 0xb8b4, v5
	v_fmac_f16_e32 v126, 0x34f2, v1
	;; [unrolled: 1-line block ×3, first 2 shown]
	v_pack_b32_f16 v1, v3, v67
	v_pack_b32_f16 v2, v2, v127
	;; [unrolled: 1-line block ×7, first 2 shown]
	v_fmac_f16_e32 v122, 0x34f2, v8
	v_fmac_f16_e32 v82, 0x34f2, v8
	v_pack_b32_f16 v8, v13, v131
	v_pack_b32_f16 v9, v68, v79
	ds_write2_b32 v107, v1, v2 offset1:13
	ds_write2_b32 v107, v3, v5 offset0:26 offset1:39
	ds_write_b32 v107, v0 offset:208
	ds_write2_b32 v108, v6, v7 offset1:13
	ds_write2_b32 v108, v8, v9 offset0:26 offset1:39
	v_pack_b32_f16 v0, v14, v138
	v_pack_b32_f16 v1, v136, v105
	;; [unrolled: 1-line block ×3, first 2 shown]
	v_add_f16_e32 v4, v10, v11
	v_pack_b32_f16 v3, v137, v132
	v_pack_b32_f16 v5, v69, v78
	;; [unrolled: 1-line block ×5, first 2 shown]
	ds_write_b32 v108, v0 offset:208
	ds_write2_b32 v110, v1, v2 offset1:13
	ds_write2_b32 v110, v3, v5 offset0:26 offset1:39
	ds_write_b32 v110, v6 offset:208
	ds_write2_b32 v109, v7, v8 offset1:13
	v_pack_b32_f16 v0, v17, v124
	v_pack_b32_f16 v1, v70, v76
	;; [unrolled: 1-line block ×8, first 2 shown]
	ds_write2_b32 v109, v0, v1 offset0:26 offset1:39
	ds_write_b32 v109, v2 offset:208
	ds_write2_b32 v111, v3, v4 offset1:13
	ds_write2_b32 v111, v5, v6 offset0:26 offset1:39
	ds_write_b32 v111, v7 offset:208
	v_add_nc_u32_e32 v0, 0x600, v90
	s_waitcnt lgkmcnt(0)
	s_barrier
	buffer_gl0_inv
	ds_read2_b32 v[4:5], v90 offset1:39
	ds_read2_b32 v[67:68], v74 offset0:69 offset1:108
	ds_read2_b32 v[65:66], v71 offset0:138 offset1:177
	;; [unrolled: 1-line block ×11, first 2 shown]
	s_and_saveexec_b32 s1, s0
	s_cbranch_execz .LBB0_19
; %bb.18:
	ds_read_b32 v81, v90 offset:1248
	ds_read_b32 v77, v90 offset:2548
	;; [unrolled: 1-line block ×3, first 2 shown]
	s_waitcnt lgkmcnt(2)
	v_lshrrev_b32_e32 v82, 16, v81
	s_waitcnt lgkmcnt(1)
	v_lshrrev_b32_e32 v123, 16, v77
	s_waitcnt lgkmcnt(0)
	v_lshrrev_b32_e32 v119, 16, v118
.LBB0_19:
	s_or_b32 exec_lo, exec_lo, s1
	s_waitcnt lgkmcnt(10)
	v_lshrrev_b32_e32 v74, 16, v67
	s_waitcnt lgkmcnt(9)
	v_lshrrev_b32_e32 v75, 16, v65
	v_lshrrev_b32_e32 v78, 16, v68
	v_mul_f16_sdwa v124, v55, v67 dst_sel:DWORD dst_unused:UNUSED_PAD src0_sel:WORD_1 src1_sel:DWORD
	v_lshrrev_b32_e32 v79, 16, v66
	v_mul_f16_sdwa v121, v55, v74 dst_sel:DWORD dst_unused:UNUSED_PAD src0_sel:WORD_1 src1_sel:DWORD
	v_mul_f16_sdwa v126, v56, v75 dst_sel:DWORD dst_unused:UNUSED_PAD src0_sel:WORD_1 src1_sel:DWORD
	s_waitcnt lgkmcnt(7)
	v_lshrrev_b32_e32 v83, 16, v18
	s_waitcnt lgkmcnt(6)
	v_lshrrev_b32_e32 v84, 16, v16
	v_lshrrev_b32_e32 v86, 16, v19
	v_fmac_f16_e32 v121, v55, v67
	v_mul_f16_sdwa v67, v56, v65 dst_sel:DWORD dst_unused:UNUSED_PAD src0_sel:WORD_1 src1_sel:DWORD
	v_fma_f16 v55, v55, v74, -v124
	v_mul_f16_sdwa v74, v51, v78 dst_sel:DWORD dst_unused:UNUSED_PAD src0_sel:WORD_1 src1_sel:DWORD
	v_fmac_f16_e32 v126, v56, v65
	v_mul_f16_sdwa v65, v51, v68 dst_sel:DWORD dst_unused:UNUSED_PAD src0_sel:WORD_1 src1_sel:DWORD
	v_fma_f16 v56, v56, v75, -v67
	v_mul_f16_sdwa v67, v52, v79 dst_sel:DWORD dst_unused:UNUSED_PAD src0_sel:WORD_1 src1_sel:DWORD
	;; [unrolled: 4-line block ×3, first 2 shown]
	v_lshrrev_b32_e32 v87, 16, v17
	v_fmac_f16_e32 v67, v52, v66
	v_mul_f16_sdwa v66, v53, v18 dst_sel:DWORD dst_unused:UNUSED_PAD src0_sel:WORD_1 src1_sel:DWORD
	v_fma_f16 v52, v52, v79, -v68
	v_mul_f16_sdwa v68, v54, v84 dst_sel:DWORD dst_unused:UNUSED_PAD src0_sel:WORD_1 src1_sel:DWORD
	v_fmac_f16_e32 v65, v53, v18
	v_mul_f16_sdwa v18, v54, v16 dst_sel:DWORD dst_unused:UNUSED_PAD src0_sel:WORD_1 src1_sel:DWORD
	s_waitcnt lgkmcnt(4)
	v_lshrrev_b32_e32 v89, 16, v14
	v_fma_f16 v53, v53, v83, -v66
	v_mul_f16_sdwa v66, v49, v86 dst_sel:DWORD dst_unused:UNUSED_PAD src0_sel:WORD_1 src1_sel:DWORD
	v_fmac_f16_e32 v68, v54, v16
	v_mul_f16_sdwa v16, v49, v19 dst_sel:DWORD dst_unused:UNUSED_PAD src0_sel:WORD_1 src1_sel:DWORD
	v_fma_f16 v18, v54, v84, -v18
	v_mul_f16_sdwa v54, v50, v87 dst_sel:DWORD dst_unused:UNUSED_PAD src0_sel:WORD_1 src1_sel:DWORD
	s_waitcnt lgkmcnt(3)
	v_lshrrev_b32_e32 v105, 16, v12
	v_lshrrev_b32_e32 v107, 16, v15
	v_fmac_f16_e32 v66, v49, v19
	v_mul_f16_sdwa v19, v50, v17 dst_sel:DWORD dst_unused:UNUSED_PAD src0_sel:WORD_1 src1_sel:DWORD
	v_fma_f16 v16, v49, v86, -v16
	v_mul_f16_sdwa v49, v57, v89 dst_sel:DWORD dst_unused:UNUSED_PAD src0_sel:WORD_1 src1_sel:DWORD
	v_fmac_f16_e32 v54, v50, v17
	v_mul_f16_sdwa v17, v57, v14 dst_sel:DWORD dst_unused:UNUSED_PAD src0_sel:WORD_1 src1_sel:DWORD
	v_lshrrev_b32_e32 v108, 16, v13
	v_fma_f16 v19, v50, v87, -v19
	v_mul_f16_sdwa v50, v58, v105 dst_sel:DWORD dst_unused:UNUSED_PAD src0_sel:WORD_1 src1_sel:DWORD
	v_fmac_f16_e32 v49, v57, v14
	v_mul_f16_sdwa v14, v58, v12 dst_sel:DWORD dst_unused:UNUSED_PAD src0_sel:WORD_1 src1_sel:DWORD
	v_fma_f16 v17, v57, v89, -v17
	v_mul_f16_sdwa v57, v63, v107 dst_sel:DWORD dst_unused:UNUSED_PAD src0_sel:WORD_1 src1_sel:DWORD
	s_waitcnt lgkmcnt(1)
	v_lshrrev_b32_e32 v110, 16, v10
	s_waitcnt lgkmcnt(0)
	v_lshrrev_b32_e32 v111, 16, v8
	v_fmac_f16_e32 v50, v58, v12
	v_mul_f16_sdwa v12, v63, v15 dst_sel:DWORD dst_unused:UNUSED_PAD src0_sel:WORD_1 src1_sel:DWORD
	v_fma_f16 v14, v58, v105, -v14
	v_mul_f16_sdwa v58, v64, v108 dst_sel:DWORD dst_unused:UNUSED_PAD src0_sel:WORD_1 src1_sel:DWORD
	v_fmac_f16_e32 v57, v63, v15
	v_mul_f16_sdwa v15, v64, v13 dst_sel:DWORD dst_unused:UNUSED_PAD src0_sel:WORD_1 src1_sel:DWORD
	v_lshrrev_b32_e32 v122, 16, v11
	v_fma_f16 v12, v63, v107, -v12
	v_mul_f16_sdwa v63, v61, v110 dst_sel:DWORD dst_unused:UNUSED_PAD src0_sel:WORD_1 src1_sel:DWORD
	v_fmac_f16_e32 v58, v64, v13
	v_mul_f16_sdwa v13, v61, v10 dst_sel:DWORD dst_unused:UNUSED_PAD src0_sel:WORD_1 src1_sel:DWORD
	v_fma_f16 v15, v64, v108, -v15
	v_mul_f16_sdwa v64, v62, v111 dst_sel:DWORD dst_unused:UNUSED_PAD src0_sel:WORD_1 src1_sel:DWORD
	v_lshrrev_b32_e32 v125, 16, v9
	v_fmac_f16_e32 v63, v61, v10
	v_mul_f16_sdwa v10, v62, v8 dst_sel:DWORD dst_unused:UNUSED_PAD src0_sel:WORD_1 src1_sel:DWORD
	v_fma_f16 v13, v61, v110, -v13
	v_mul_f16_sdwa v61, v59, v122 dst_sel:DWORD dst_unused:UNUSED_PAD src0_sel:WORD_1 src1_sel:DWORD
	v_fmac_f16_e32 v64, v62, v8
	v_mul_f16_sdwa v8, v59, v11 dst_sel:DWORD dst_unused:UNUSED_PAD src0_sel:WORD_1 src1_sel:DWORD
	v_lshrrev_b32_e32 v73, 16, v4
	v_fma_f16 v10, v62, v111, -v10
	v_mul_f16_sdwa v62, v60, v125 dst_sel:DWORD dst_unused:UNUSED_PAD src0_sel:WORD_1 src1_sel:DWORD
	v_fmac_f16_e32 v61, v59, v11
	v_mul_f16_sdwa v11, v60, v9 dst_sel:DWORD dst_unused:UNUSED_PAD src0_sel:WORD_1 src1_sel:DWORD
	v_fma_f16 v8, v59, v122, -v8
	v_add_f16_e32 v59, v121, v126
	v_fmac_f16_e32 v62, v60, v9
	v_add_f16_e32 v9, v4, v121
	v_fma_f16 v11, v60, v125, -v11
	v_add_f16_e32 v60, v55, v56
	v_fma_f16 v4, -0.5, v59, v4
	v_sub_f16_e32 v59, v55, v56
	v_add_f16_e32 v55, v73, v55
	v_lshrrev_b32_e32 v76, 16, v5
	v_fmac_f16_e32 v73, -0.5, v60
	v_sub_f16_e32 v60, v121, v126
	v_fmamk_f16 v75, v59, 0xbaee, v4
	v_add_f16_e32 v55, v55, v56
	v_add_f16_e32 v56, v74, v67
	v_fmac_f16_e32 v4, 0x3aee, v59
	v_fmamk_f16 v59, v60, 0x3aee, v73
	v_add_f16_e32 v78, v5, v74
	v_fmac_f16_e32 v73, 0xbaee, v60
	v_add_f16_e32 v60, v51, v52
	v_fmac_f16_e32 v5, -0.5, v56
	v_sub_f16_e32 v56, v51, v52
	v_add_f16_e32 v51, v76, v51
	v_lshrrev_b32_e32 v80, 16, v6
	v_fmac_f16_e32 v76, -0.5, v60
	v_sub_f16_e32 v60, v74, v67
	v_add_f16_e32 v78, v78, v67
	v_add_f16_e32 v51, v51, v52
	;; [unrolled: 1-line block ×3, first 2 shown]
	v_fmamk_f16 v67, v56, 0xbaee, v5
	v_fmac_f16_e32 v5, 0x3aee, v56
	v_fmamk_f16 v56, v60, 0x3aee, v76
	v_add_f16_e32 v74, v6, v65
	v_fmac_f16_e32 v76, 0xbaee, v60
	v_add_f16_e32 v60, v53, v18
	v_fma_f16 v6, -0.5, v52, v6
	v_sub_f16_e32 v52, v53, v18
	v_lshrrev_b32_e32 v85, 16, v7
	v_add_f16_e32 v53, v80, v53
	v_fmac_f16_e32 v80, -0.5, v60
	v_sub_f16_e32 v60, v65, v68
	v_fmamk_f16 v65, v52, 0xbaee, v6
	v_fmac_f16_e32 v6, 0x3aee, v52
	v_add_f16_e32 v52, v66, v54
	v_add_f16_e32 v74, v74, v68
	;; [unrolled: 1-line block ×3, first 2 shown]
	v_fmamk_f16 v53, v60, 0x3aee, v80
	v_add_f16_e32 v68, v7, v66
	v_fmac_f16_e32 v80, 0xbaee, v60
	v_add_f16_e32 v60, v16, v19
	v_fmac_f16_e32 v7, -0.5, v52
	v_sub_f16_e32 v52, v16, v19
	v_add_f16_e32 v16, v85, v16
	v_lshrrev_b32_e32 v88, 16, v2
	v_add_f16_e32 v68, v68, v54
	v_fmac_f16_e32 v85, -0.5, v60
	v_sub_f16_e32 v54, v66, v54
	v_add_f16_e32 v16, v16, v19
	v_add_f16_e32 v19, v49, v50
	v_fmamk_f16 v60, v52, 0xbaee, v7
	v_fmac_f16_e32 v7, 0x3aee, v52
	v_fmamk_f16 v52, v54, 0x3aee, v85
	v_add_f16_e32 v66, v2, v49
	v_fmac_f16_e32 v85, 0xbaee, v54
	v_add_f16_e32 v54, v17, v14
	v_fma_f16 v2, -0.5, v19, v2
	v_sub_f16_e32 v19, v17, v14
	v_add_f16_e32 v17, v88, v17
	v_lshrrev_b32_e32 v106, 16, v3
	v_fmac_f16_e32 v88, -0.5, v54
	v_sub_f16_e32 v49, v49, v50
	v_add_f16_e32 v66, v66, v50
	v_add_f16_e32 v14, v17, v14
	;; [unrolled: 1-line block ×3, first 2 shown]
	v_fmamk_f16 v50, v19, 0xbaee, v2
	v_fmac_f16_e32 v2, 0x3aee, v19
	v_fmamk_f16 v19, v49, 0x3aee, v88
	v_add_f16_e32 v54, v3, v57
	v_fmac_f16_e32 v88, 0xbaee, v49
	v_add_f16_e32 v49, v12, v15
	v_fmac_f16_e32 v3, -0.5, v17
	v_sub_f16_e32 v17, v12, v15
	v_add_f16_e32 v12, v106, v12
	v_lshrrev_b32_e32 v109, 16, v0
	v_fmac_f16_e32 v106, -0.5, v49
	v_sub_f16_e32 v49, v57, v58
	v_add_f16_e32 v54, v54, v58
	v_add_f16_e32 v12, v12, v15
	;; [unrolled: 1-line block ×3, first 2 shown]
	v_fmamk_f16 v57, v17, 0xbaee, v3
	v_fmac_f16_e32 v3, 0x3aee, v17
	v_fmamk_f16 v17, v49, 0x3aee, v106
	v_add_f16_e32 v58, v0, v63
	v_fmac_f16_e32 v106, 0xbaee, v49
	v_add_f16_e32 v49, v13, v10
	v_fma_f16 v0, -0.5, v15, v0
	v_sub_f16_e32 v15, v13, v10
	v_add_f16_e32 v13, v109, v13
	v_add_nc_u32_e32 v71, 0x138, v120
	v_fmac_f16_e32 v109, -0.5, v49
	v_sub_f16_e32 v49, v63, v64
	v_add_nc_u32_e32 v70, 0x1d4, v120
	v_add_f16_e32 v10, v13, v10
	v_add_f16_e32 v13, v61, v62
	v_add_nc_u32_e32 v69, 0x270, v120
	v_lshrrev_b32_e32 v120, 16, v1
	v_add_f16_e32 v9, v9, v126
	v_add_f16_e32 v58, v58, v64
	v_fmamk_f16 v63, v15, 0xbaee, v0
	v_fmac_f16_e32 v0, 0x3aee, v15
	v_fmamk_f16 v15, v49, 0x3aee, v109
	v_fmac_f16_e32 v109, 0xbaee, v49
	v_add_f16_e32 v49, v8, v11
	v_add_f16_e32 v64, v1, v61
	v_fmac_f16_e32 v1, -0.5, v13
	v_sub_f16_e32 v13, v8, v11
	v_add_f16_e32 v8, v120, v8
	v_fmac_f16_e32 v120, -0.5, v49
	v_sub_f16_e32 v49, v61, v62
	v_add_f16_e32 v61, v64, v62
	v_fmamk_f16 v62, v13, 0xbaee, v1
	v_fmac_f16_e32 v1, 0x3aee, v13
	v_pack_b32_f16 v9, v9, v55
	v_pack_b32_f16 v13, v75, v59
	;; [unrolled: 1-line block ×3, first 2 shown]
	s_barrier
	buffer_gl0_inv
	ds_write2_b32 v90, v9, v13 offset1:65
	v_pack_b32_f16 v9, v78, v51
	v_pack_b32_f16 v13, v67, v56
	;; [unrolled: 1-line block ×3, first 2 shown]
	v_add_f16_e32 v8, v8, v11
	v_fmamk_f16 v11, v49, 0x3aee, v120
	v_fmac_f16_e32 v120, 0xbaee, v49
	v_pack_b32_f16 v18, v74, v18
	v_pack_b32_f16 v49, v65, v53
	;; [unrolled: 1-line block ×3, first 2 shown]
	ds_write_b32 v90, v4 offset:520
	ds_write2_b32 v117, v9, v13 offset1:65
	ds_write_b32 v117, v5 offset:520
	ds_write2_b32 v72, v18, v49 offset0:80 offset1:145
	ds_write_b32 v90, v6 offset:1352
	v_pack_b32_f16 v4, v68, v16
	v_pack_b32_f16 v5, v60, v52
	;; [unrolled: 1-line block ×5, first 2 shown]
	v_add_nc_u32_e32 v13, 0x400, v115
	v_pack_b32_f16 v2, v2, v88
	v_pack_b32_f16 v12, v54, v12
	;; [unrolled: 1-line block ×3, first 2 shown]
	v_add_nc_u32_e32 v16, 0x800, v114
	ds_write2_b32 v116, v4, v5 offset1:65
	ds_write_b32 v116, v6 offset:520
	ds_write2_b32 v13, v7, v9 offset0:134 offset1:199
	ds_write_b32 v115, v2 offset:2080
	ds_write2_b32 v16, v12, v14 offset0:73 offset1:138
	v_pack_b32_f16 v2, v3, v106
	v_pack_b32_f16 v3, v58, v10
	;; [unrolled: 1-line block ×6, first 2 shown]
	v_add_nc_u32_e32 v7, 0xc00, v112
	v_pack_b32_f16 v1, v1, v120
	ds_write_b32 v114, v2 offset:2860
	ds_write2_b32 v113, v3, v4 offset1:65
	ds_write_b32 v113, v0 offset:520
	ds_write2_b32 v7, v5, v6 offset0:12 offset1:77
	ds_write_b32 v112, v1 offset:3640
	s_and_saveexec_b32 s1, s0
	s_cbranch_execz .LBB0_21
; %bb.20:
	v_mul_f16_sdwa v0, v47, v77 dst_sel:DWORD dst_unused:UNUSED_PAD src0_sel:WORD_1 src1_sel:DWORD
	v_mul_f16_sdwa v1, v48, v118 dst_sel:DWORD dst_unused:UNUSED_PAD src0_sel:WORD_1 src1_sel:DWORD
	;; [unrolled: 1-line block ×4, first 2 shown]
	v_lshl_add_u32 v5, v45, 2, v104
	v_fma_f16 v0, v47, v123, -v0
	v_fma_f16 v1, v48, v119, -v1
	v_fmac_f16_e32 v2, v47, v77
	v_fmac_f16_e32 v3, v48, v118
	v_add_f16_e32 v8, v82, v0
	v_add_f16_e32 v4, v0, v1
	v_sub_f16_e32 v0, v0, v1
	v_add_f16_e32 v6, v2, v3
	v_sub_f16_e32 v7, v2, v3
	v_add_f16_e32 v2, v81, v2
	v_fma_f16 v4, -0.5, v4, v82
	v_add_f16_e32 v1, v8, v1
	v_fma_f16 v6, -0.5, v6, v81
	v_add_f16_e32 v2, v2, v3
	v_fmamk_f16 v8, v7, 0xbaee, v4
	v_fmac_f16_e32 v4, 0x3aee, v7
	v_fmamk_f16 v7, v0, 0x3aee, v6
	v_fmac_f16_e32 v6, 0xbaee, v0
	v_add_nc_u32_e32 v0, 0xc00, v5
	v_pack_b32_f16 v1, v2, v1
	v_pack_b32_f16 v3, v7, v8
	;; [unrolled: 1-line block ×3, first 2 shown]
	ds_write2_b32 v0, v1, v2 offset0:12 offset1:77
	ds_write_b32 v5, v3 offset:3640
.LBB0_21:
	s_or_b32 exec_lo, exec_lo, s1
	s_waitcnt lgkmcnt(0)
	s_barrier
	buffer_gl0_inv
	ds_read2_b32 v[2:3], v90 offset1:39
	ds_read2_b32 v[0:1], v90 offset0:156 offset1:195
	v_add_nc_u32_e32 v8, 0x400, v90
	v_add_nc_u32_e32 v7, 0x800, v90
	;; [unrolled: 1-line block ×4, first 2 shown]
	ds_read2_b32 v[15:16], v8 offset0:134 offset1:173
	ds_read2_b32 v[17:18], v7 offset0:34 offset1:73
	;; [unrolled: 1-line block ×10, first 2 shown]
	ds_read_b32 v45, v90 offset:3744
	s_mov_b32 s4, 0xaa677344
	s_mov_b32 s5, 0x3f50cdd9
	s_mul_hi_u32 s3, s8, 0x4b
	s_waitcnt lgkmcnt(10)
	v_lshrrev_b32_e32 v61, 16, v15
	s_waitcnt lgkmcnt(9)
	v_lshrrev_b32_e32 v62, 16, v18
	;; [unrolled: 2-line block ×4, first 2 shown]
	v_lshrrev_b32_e32 v19, 16, v1
	v_mul_f16_sdwa v84, v25, v61 dst_sel:DWORD dst_unused:UNUSED_PAD src0_sel:WORD_1 src1_sel:DWORD
	v_mul_f16_sdwa v85, v25, v15 dst_sel:DWORD dst_unused:UNUSED_PAD src0_sel:WORD_1 src1_sel:DWORD
	;; [unrolled: 1-line block ×5, first 2 shown]
	v_lshrrev_b32_e32 v65, 16, v16
	s_waitcnt lgkmcnt(6)
	v_lshrrev_b32_e32 v66, 16, v51
	v_lshrrev_b32_e32 v67, 16, v48
	v_fmac_f16_e32 v84, v25, v15
	v_fmac_f16_e32 v79, v24, v1
	v_mul_f16_sdwa v1, v24, v1 dst_sel:DWORD dst_unused:UNUSED_PAD src0_sel:WORD_1 src1_sel:DWORD
	v_fma_f16 v61, v25, v61, -v85
	v_fmac_f16_e32 v86, v26, v18
	v_fma_f16 v26, v26, v62, -v87
	v_mul_f16_sdwa v62, v27, v63 dst_sel:DWORD dst_unused:UNUSED_PAD src0_sel:WORD_1 src1_sel:DWORD
	v_fma_f16 v88, v24, v19, -v1
	v_mul_f16_sdwa v1, v27, v47 dst_sel:DWORD dst_unused:UNUSED_PAD src0_sel:WORD_1 src1_sel:DWORD
	v_mul_f16_sdwa v85, v28, v64 dst_sel:DWORD dst_unused:UNUSED_PAD src0_sel:WORD_1 src1_sel:DWORD
	v_mul_f16_sdwa v15, v28, v49 dst_sel:DWORD dst_unused:UNUSED_PAD src0_sel:WORD_1 src1_sel:DWORD
	v_lshrrev_b32_e32 v68, 16, v50
	s_waitcnt lgkmcnt(4)
	v_lshrrev_b32_e32 v72, 16, v53
	v_mul_f16_sdwa v87, v29, v65 dst_sel:DWORD dst_unused:UNUSED_PAD src0_sel:WORD_1 src1_sel:DWORD
	v_fmac_f16_e32 v62, v27, v47
	v_fma_f16 v27, v27, v63, -v1
	v_fmac_f16_e32 v85, v28, v49
	v_fma_f16 v28, v28, v64, -v15
	v_mul_f16_sdwa v1, v29, v16 dst_sel:DWORD dst_unused:UNUSED_PAD src0_sel:WORD_1 src1_sel:DWORD
	v_mul_f16_sdwa v47, v30, v66 dst_sel:DWORD dst_unused:UNUSED_PAD src0_sel:WORD_1 src1_sel:DWORD
	;; [unrolled: 1-line block ×4, first 2 shown]
	v_lshrrev_b32_e32 v73, 16, v52
	s_waitcnt lgkmcnt(3)
	v_lshrrev_b32_e32 v74, 16, v55
	v_fmac_f16_e32 v87, v29, v16
	v_mul_f16_sdwa v16, v31, v48 dst_sel:DWORD dst_unused:UNUSED_PAD src0_sel:WORD_1 src1_sel:DWORD
	v_fma_f16 v29, v29, v65, -v1
	v_fmac_f16_e32 v47, v30, v51
	v_fma_f16 v30, v30, v66, -v15
	v_fmac_f16_e32 v49, v31, v48
	v_mul_f16_sdwa v48, v36, v68 dst_sel:DWORD dst_unused:UNUSED_PAD src0_sel:WORD_1 src1_sel:DWORD
	v_mul_f16_sdwa v1, v36, v50 dst_sel:DWORD dst_unused:UNUSED_PAD src0_sel:WORD_1 src1_sel:DWORD
	;; [unrolled: 1-line block ×4, first 2 shown]
	s_waitcnt lgkmcnt(2)
	v_lshrrev_b32_e32 v75, 16, v57
	v_lshrrev_b32_e32 v76, 16, v54
	s_waitcnt lgkmcnt(1)
	v_lshrrev_b32_e32 v77, 16, v59
	v_mul_f16_sdwa v63, v38, v73 dst_sel:DWORD dst_unused:UNUSED_PAD src0_sel:WORD_1 src1_sel:DWORD
	v_fmac_f16_e32 v48, v36, v50
	v_fma_f16 v36, v36, v68, -v1
	v_fmac_f16_e32 v51, v37, v53
	v_fma_f16 v37, v37, v72, -v15
	v_mul_f16_sdwa v1, v38, v52 dst_sel:DWORD dst_unused:UNUSED_PAD src0_sel:WORD_1 src1_sel:DWORD
	v_mul_f16_sdwa v50, v39, v74 dst_sel:DWORD dst_unused:UNUSED_PAD src0_sel:WORD_1 src1_sel:DWORD
	;; [unrolled: 1-line block ×3, first 2 shown]
	v_lshrrev_b32_e32 v78, 16, v56
	v_lshrrev_b32_e32 v81, 16, v17
	v_fmac_f16_e32 v63, v38, v52
	v_mul_f16_sdwa v52, v32, v75 dst_sel:DWORD dst_unused:UNUSED_PAD src0_sel:WORD_1 src1_sel:DWORD
	v_fma_f16 v38, v38, v73, -v1
	v_fmac_f16_e32 v50, v39, v55
	v_fma_f16 v39, v39, v74, -v15
	v_mul_f16_sdwa v53, v33, v76 dst_sel:DWORD dst_unused:UNUSED_PAD src0_sel:WORD_1 src1_sel:DWORD
	v_mul_f16_sdwa v1, v33, v54 dst_sel:DWORD dst_unused:UNUSED_PAD src0_sel:WORD_1 src1_sel:DWORD
	;; [unrolled: 1-line block ×4, first 2 shown]
	v_lshrrev_b32_e32 v80, 16, v58
	v_lshrrev_b32_e32 v82, 16, v60
	s_waitcnt lgkmcnt(0)
	v_lshrrev_b32_e32 v83, 16, v45
	v_fma_f16 v31, v31, v67, -v16
	v_mul_f16_sdwa v16, v32, v57 dst_sel:DWORD dst_unused:UNUSED_PAD src0_sel:WORD_1 src1_sel:DWORD
	v_fmac_f16_e32 v52, v32, v57
	v_mul_f16_sdwa v57, v35, v78 dst_sel:DWORD dst_unused:UNUSED_PAD src0_sel:WORD_1 src1_sel:DWORD
	v_fmac_f16_e32 v53, v33, v54
	v_fma_f16 v33, v33, v76, -v1
	v_fmac_f16_e32 v55, v34, v59
	v_fma_f16 v34, v34, v77, -v15
	v_mul_f16_sdwa v1, v35, v56 dst_sel:DWORD dst_unused:UNUSED_PAD src0_sel:WORD_1 src1_sel:DWORD
	v_mul_f16_sdwa v15, v20, v58 dst_sel:DWORD dst_unused:UNUSED_PAD src0_sel:WORD_1 src1_sel:DWORD
	;; [unrolled: 1-line block ×4, first 2 shown]
	v_fma_f16 v32, v32, v75, -v16
	v_fmac_f16_e32 v57, v35, v56
	v_mul_f16_sdwa v19, v20, v80 dst_sel:DWORD dst_unused:UNUSED_PAD src0_sel:WORD_1 src1_sel:DWORD
	v_fma_f16 v35, v35, v78, -v1
	v_fma_f16 v16, v20, v80, -v15
	v_fmac_f16_e32 v18, v21, v17
	v_fma_f16 v17, v21, v81, -v24
	v_add_f16_e32 v1, v84, v86
	v_mul_f16_sdwa v21, v22, v82 dst_sel:DWORD dst_unused:UNUSED_PAD src0_sel:WORD_1 src1_sel:DWORD
	v_mul_f16_sdwa v15, v22, v60 dst_sel:DWORD dst_unused:UNUSED_PAD src0_sel:WORD_1 src1_sel:DWORD
	;; [unrolled: 1-line block ×3, first 2 shown]
	v_add_f16_e32 v24, v2, v79
	v_lshrrev_b32_e32 v14, 16, v2
	v_fmac_f16_e32 v19, v20, v58
	v_fma_f16 v1, -0.5, v1, v2
	v_sub_f16_e32 v56, v88, v27
	v_fmac_f16_e32 v21, v22, v60
	v_fma_f16 v20, v22, v82, -v15
	v_fmac_f16_e32 v54, v23, v45
	v_add_f16_e32 v22, v24, v84
	v_sub_f16_e32 v24, v79, v84
	v_sub_f16_e32 v58, v62, v86
	v_add_f16_e32 v59, v79, v62
	v_mul_f16_sdwa v45, v23, v45 dst_sel:DWORD dst_unused:UNUSED_PAD src0_sel:WORD_1 src1_sel:DWORD
	v_fmamk_f16 v15, v56, 0xbb9c, v1
	v_sub_f16_e32 v25, v61, v26
	v_add_f16_e32 v58, v24, v58
	v_fma_f16 v2, -0.5, v59, v2
	v_fma_f16 v24, v23, v83, -v45
	v_fmac_f16_e32 v1, 0x3b9c, v56
	v_sub_f16_e32 v45, v84, v79
	v_sub_f16_e32 v59, v86, v62
	v_add_f16_e32 v60, v14, v88
	v_add_f16_e32 v64, v61, v26
	;; [unrolled: 1-line block ×3, first 2 shown]
	v_fmac_f16_e32 v15, 0xb8b4, v25
	v_fmamk_f16 v23, v25, 0x3b9c, v2
	v_fmac_f16_e32 v1, 0x38b4, v25
	v_add_f16_e32 v45, v45, v59
	v_fmac_f16_e32 v2, 0xbb9c, v25
	v_add_f16_e32 v59, v60, v61
	v_fma_f16 v25, -0.5, v64, v14
	v_sub_f16_e32 v60, v79, v62
	v_add_f16_e32 v22, v22, v62
	v_fmac_f16_e32 v15, 0x34f2, v58
	v_fmac_f16_e32 v23, 0xb8b4, v56
	;; [unrolled: 1-line block ×4, first 2 shown]
	v_add_f16_e32 v56, v59, v26
	v_fmamk_f16 v58, v60, 0x3b9c, v25
	v_add_f16_e32 v59, v88, v27
	v_sub_f16_e32 v62, v84, v86
	v_sub_f16_e32 v64, v88, v61
	;; [unrolled: 1-line block ×3, first 2 shown]
	v_fmac_f16_e32 v25, 0xbb9c, v60
	v_sub_f16_e32 v61, v61, v88
	v_sub_f16_e32 v26, v26, v27
	v_fmac_f16_e32 v23, 0x34f2, v45
	v_fmac_f16_e32 v2, 0x34f2, v45
	v_fmac_f16_e32 v14, -0.5, v59
	v_add_f16_e32 v45, v56, v27
	v_fmac_f16_e32 v58, 0x38b4, v62
	v_add_f16_e32 v56, v64, v65
	v_fmac_f16_e32 v25, 0xb8b4, v62
	v_add_f16_e32 v26, v61, v26
	v_add_f16_e32 v61, v3, v85
	v_fmamk_f16 v59, v62, 0xbb9c, v14
	v_fmac_f16_e32 v58, 0x34f2, v56
	v_add_f16_e32 v27, v87, v47
	v_fmac_f16_e32 v25, 0x34f2, v56
	v_fmac_f16_e32 v14, 0x3b9c, v62
	v_add_f16_e32 v56, v61, v87
	v_add_f16_e32 v67, v85, v49
	v_lshrrev_b32_e32 v13, 16, v3
	v_fmac_f16_e32 v59, 0x38b4, v60
	v_fma_f16 v27, -0.5, v27, v3
	v_sub_f16_e32 v64, v28, v31
	v_sub_f16_e32 v62, v29, v30
	;; [unrolled: 1-line block ×4, first 2 shown]
	v_fmac_f16_e32 v14, 0xb8b4, v60
	v_add_f16_e32 v56, v56, v47
	v_fmac_f16_e32 v3, -0.5, v67
	v_fmac_f16_e32 v59, 0x34f2, v26
	v_fmamk_f16 v61, v64, 0xbb9c, v27
	v_add_f16_e32 v60, v65, v66
	v_fmac_f16_e32 v14, 0x34f2, v26
	v_add_f16_e32 v26, v56, v49
	v_fmac_f16_e32 v27, 0x3b9c, v64
	v_fmamk_f16 v56, v62, 0x3b9c, v3
	v_sub_f16_e32 v65, v87, v85
	v_sub_f16_e32 v66, v47, v49
	v_add_f16_e32 v67, v13, v28
	v_add_f16_e32 v68, v29, v30
	v_fmac_f16_e32 v3, 0xbb9c, v62
	v_fmac_f16_e32 v61, 0xb8b4, v62
	;; [unrolled: 1-line block ×4, first 2 shown]
	v_add_f16_e32 v65, v65, v66
	v_add_f16_e32 v62, v67, v29
	v_fma_f16 v66, -0.5, v68, v13
	v_sub_f16_e32 v49, v85, v49
	v_fmac_f16_e32 v3, 0x38b4, v64
	v_add_f16_e32 v64, v28, v31
	v_sub_f16_e32 v67, v28, v29
	v_sub_f16_e32 v28, v29, v28
	;; [unrolled: 1-line block ×3, first 2 shown]
	v_fmac_f16_e32 v61, 0x34f2, v60
	v_fmac_f16_e32 v27, 0x34f2, v60
	v_add_f16_e32 v60, v62, v30
	v_fmamk_f16 v62, v49, 0x3b9c, v66
	v_sub_f16_e32 v47, v87, v47
	v_sub_f16_e32 v68, v31, v30
	v_fmac_f16_e32 v13, -0.5, v64
	v_fmac_f16_e32 v66, 0xbb9c, v49
	v_add_f16_e32 v30, v51, v63
	v_add_f16_e32 v28, v28, v29
	v_add_f16_e32 v29, v4, v48
	v_lshrrev_b32_e32 v12, 16, v4
	v_fmac_f16_e32 v56, 0x34f2, v65
	v_fmac_f16_e32 v3, 0x34f2, v65
	v_add_f16_e32 v60, v60, v31
	v_fmac_f16_e32 v62, 0x38b4, v47
	v_add_f16_e32 v64, v67, v68
	v_fmamk_f16 v65, v47, 0xbb9c, v13
	v_fmac_f16_e32 v66, 0xb8b4, v47
	v_fma_f16 v30, -0.5, v30, v4
	v_sub_f16_e32 v31, v36, v39
	v_fmac_f16_e32 v13, 0x3b9c, v47
	v_add_f16_e32 v29, v29, v51
	v_sub_f16_e32 v67, v48, v51
	v_sub_f16_e32 v68, v50, v63
	v_add_f16_e32 v72, v48, v50
	v_fmac_f16_e32 v62, 0x34f2, v64
	v_fmac_f16_e32 v65, 0x38b4, v49
	v_fmac_f16_e32 v66, 0x34f2, v64
	v_fmamk_f16 v47, v31, 0xbb9c, v30
	v_sub_f16_e32 v64, v37, v38
	v_fmac_f16_e32 v13, 0xb8b4, v49
	v_add_f16_e32 v29, v29, v63
	v_add_f16_e32 v49, v67, v68
	v_fma_f16 v4, -0.5, v72, v4
	v_fmac_f16_e32 v30, 0x3b9c, v31
	v_sub_f16_e32 v67, v51, v48
	v_sub_f16_e32 v68, v63, v50
	v_add_f16_e32 v72, v12, v36
	v_add_f16_e32 v73, v37, v38
	v_fmac_f16_e32 v65, 0x34f2, v28
	v_fmac_f16_e32 v47, 0xb8b4, v64
	;; [unrolled: 1-line block ×3, first 2 shown]
	v_add_f16_e32 v28, v29, v50
	v_fmamk_f16 v29, v64, 0x3b9c, v4
	v_fmac_f16_e32 v30, 0x38b4, v64
	v_add_f16_e32 v67, v67, v68
	v_fmac_f16_e32 v4, 0xbb9c, v64
	v_add_f16_e32 v64, v72, v37
	v_fma_f16 v68, -0.5, v73, v12
	v_sub_f16_e32 v48, v48, v50
	v_add_f16_e32 v50, v36, v39
	v_sub_f16_e32 v51, v51, v63
	v_sub_f16_e32 v63, v36, v37
	;; [unrolled: 1-line block ×4, first 2 shown]
	v_fmac_f16_e32 v47, 0x34f2, v49
	v_fmac_f16_e32 v29, 0xb8b4, v31
	;; [unrolled: 1-line block ×4, first 2 shown]
	v_add_f16_e32 v31, v64, v38
	v_fmamk_f16 v49, v48, 0x3b9c, v68
	v_sub_f16_e32 v64, v39, v38
	v_fmac_f16_e32 v12, -0.5, v50
	v_fmac_f16_e32 v68, 0xbb9c, v48
	v_add_f16_e32 v38, v53, v55
	v_add_f16_e32 v36, v36, v37
	;; [unrolled: 1-line block ×3, first 2 shown]
	v_lshrrev_b32_e32 v11, 16, v5
	v_add_f16_e32 v31, v31, v39
	v_fmac_f16_e32 v49, 0x38b4, v51
	v_add_f16_e32 v50, v63, v64
	v_fmamk_f16 v63, v51, 0xbb9c, v12
	v_fmac_f16_e32 v68, 0xb8b4, v51
	v_fma_f16 v38, -0.5, v38, v5
	v_sub_f16_e32 v39, v32, v35
	v_fmac_f16_e32 v12, 0x3b9c, v51
	v_add_f16_e32 v37, v37, v53
	v_add_f16_e32 v72, v52, v57
	v_fmac_f16_e32 v29, 0x34f2, v67
	v_fmac_f16_e32 v4, 0x34f2, v67
	;; [unrolled: 1-line block ×5, first 2 shown]
	v_fmamk_f16 v50, v39, 0xbb9c, v38
	v_sub_f16_e32 v51, v33, v34
	v_sub_f16_e32 v64, v52, v53
	;; [unrolled: 1-line block ×3, first 2 shown]
	v_fmac_f16_e32 v12, 0xb8b4, v48
	v_add_f16_e32 v37, v37, v55
	v_fmac_f16_e32 v5, -0.5, v72
	v_fmac_f16_e32 v38, 0x3b9c, v39
	v_add_f16_e32 v72, v11, v32
	v_fmac_f16_e32 v63, 0x34f2, v36
	v_fmac_f16_e32 v50, 0xb8b4, v51
	v_add_f16_e32 v48, v64, v67
	v_fmac_f16_e32 v12, 0x34f2, v36
	v_add_f16_e32 v36, v37, v57
	v_fmamk_f16 v37, v51, 0x3b9c, v5
	v_sub_f16_e32 v64, v53, v52
	v_sub_f16_e32 v67, v55, v57
	v_fmac_f16_e32 v38, 0x38b4, v51
	v_add_f16_e32 v73, v33, v34
	v_fmac_f16_e32 v5, 0xbb9c, v51
	v_add_f16_e32 v51, v72, v33
	;; [unrolled: 2-line block ×3, first 2 shown]
	v_fma_f16 v67, -0.5, v73, v11
	v_sub_f16_e32 v52, v52, v57
	v_fmac_f16_e32 v5, 0x38b4, v39
	v_add_f16_e32 v39, v51, v34
	v_add_f16_e32 v51, v32, v35
	v_fmac_f16_e32 v50, 0x34f2, v48
	v_fmac_f16_e32 v38, 0x34f2, v48
	v_fmamk_f16 v48, v52, 0x3b9c, v67
	v_sub_f16_e32 v53, v53, v55
	v_sub_f16_e32 v55, v32, v33
	;; [unrolled: 1-line block ×3, first 2 shown]
	v_fmac_f16_e32 v11, -0.5, v51
	v_fmac_f16_e32 v67, 0xbb9c, v52
	v_sub_f16_e32 v32, v33, v32
	v_sub_f16_e32 v33, v34, v35
	v_add_f16_e32 v34, v18, v21
	v_add_f16_e32 v39, v39, v35
	v_fmac_f16_e32 v48, 0x38b4, v53
	v_add_f16_e32 v51, v55, v57
	v_fmamk_f16 v55, v53, 0xbb9c, v11
	v_fmac_f16_e32 v67, 0xb8b4, v53
	v_add_f16_e32 v32, v32, v33
	v_fmac_f16_e32 v11, 0x3b9c, v53
	v_add_f16_e32 v33, v0, v19
	v_fma_f16 v34, -0.5, v34, v0
	v_sub_f16_e32 v35, v16, v24
	v_fmac_f16_e32 v37, 0x34f2, v64
	v_fmac_f16_e32 v5, 0x34f2, v64
	;; [unrolled: 1-line block ×6, first 2 shown]
	v_add_f16_e32 v33, v33, v18
	v_fmamk_f16 v51, v35, 0xbb9c, v34
	v_sub_f16_e32 v52, v17, v20
	v_sub_f16_e32 v53, v19, v18
	;; [unrolled: 1-line block ×3, first 2 shown]
	v_fmac_f16_e32 v34, 0x3b9c, v35
	v_add_f16_e32 v64, v19, v54
	v_lshrrev_b32_e32 v10, 16, v0
	v_add_f16_e32 v33, v33, v21
	v_fmac_f16_e32 v51, 0xb8b4, v52
	v_add_f16_e32 v53, v53, v57
	v_fmac_f16_e32 v34, 0x38b4, v52
	v_fmac_f16_e32 v0, -0.5, v64
	v_sub_f16_e32 v57, v18, v19
	v_sub_f16_e32 v64, v21, v54
	v_fmac_f16_e32 v55, 0x34f2, v32
	v_fmac_f16_e32 v11, 0x34f2, v32
	v_add_f16_e32 v32, v33, v54
	v_fmac_f16_e32 v51, 0x34f2, v53
	v_fmac_f16_e32 v34, 0x34f2, v53
	v_fmamk_f16 v33, v52, 0x3b9c, v0
	v_add_f16_e32 v53, v17, v20
	v_fmac_f16_e32 v0, 0xbb9c, v52
	v_add_f16_e32 v52, v10, v16
	v_sub_f16_e32 v19, v19, v54
	v_add_f16_e32 v54, v57, v64
	v_add_f16_e32 v57, v16, v24
	v_fma_f16 v53, -0.5, v53, v10
	v_fmac_f16_e32 v33, 0xb8b4, v35
	v_fmac_f16_e32 v0, 0x38b4, v35
	v_add_f16_e32 v35, v52, v17
	v_sub_f16_e32 v18, v18, v21
	v_fmac_f16_e32 v10, -0.5, v57
	v_fmamk_f16 v52, v19, 0x3b9c, v53
	v_fmac_f16_e32 v33, 0x34f2, v54
	v_add_f16_e32 v21, v35, v20
	v_sub_f16_e32 v35, v16, v17
	v_fmamk_f16 v57, v18, 0xbb9c, v10
	v_sub_f16_e32 v16, v17, v16
	v_sub_f16_e32 v17, v20, v24
	v_fmac_f16_e32 v10, 0x3b9c, v18
	v_fmac_f16_e32 v0, 0x34f2, v54
	v_sub_f16_e32 v54, v24, v20
	v_fmac_f16_e32 v53, 0xbb9c, v19
	v_fmac_f16_e32 v57, 0x38b4, v19
	v_add_f16_e32 v16, v16, v17
	v_fmac_f16_e32 v10, 0xb8b4, v19
	v_fmac_f16_e32 v52, 0x38b4, v18
	v_add_f16_e32 v20, v35, v54
	v_fmac_f16_e32 v53, 0xb8b4, v18
	v_fmac_f16_e32 v57, 0x34f2, v16
	;; [unrolled: 1-line block ×3, first 2 shown]
	v_pack_b32_f16 v16, v22, v45
	v_pack_b32_f16 v19, v26, v60
	v_add_f16_e32 v17, v21, v24
	v_fmac_f16_e32 v52, 0x34f2, v20
	v_fmac_f16_e32 v53, 0x34f2, v20
	v_pack_b32_f16 v18, v23, v59
	v_pack_b32_f16 v20, v61, v62
	v_add_nc_u32_e32 v21, 0x300, v90
	v_pack_b32_f16 v14, v2, v14
	v_pack_b32_f16 v22, v56, v65
	v_add_nc_u32_e32 v2, 0x600, v90
	v_pack_b32_f16 v1, v1, v25
	v_pack_b32_f16 v3, v3, v13
	v_add_nc_u32_e32 v13, 0x900, v90
	ds_write2_b32 v90, v16, v19 offset1:39
	ds_write2_b32 v21, v20, v18 offset0:42 offset1:198
	ds_write2_b32 v2, v22, v14 offset0:45 offset1:201
	v_pack_b32_f16 v14, v27, v66
	v_pack_b32_f16 v18, v47, v49
	;; [unrolled: 1-line block ×3, first 2 shown]
	v_add_nc_u32_e32 v20, 0x300, v71
	v_pack_b32_f16 v4, v4, v12
	v_pack_b32_f16 v12, v30, v68
	v_add_nc_u32_e32 v21, 0x900, v71
	v_pack_b32_f16 v16, v28, v31
	v_pack_b32_f16 v22, v36, v39
	ds_write2_b32 v13, v3, v1 offset0:48 offset1:204
	ds_write_b32 v90, v14 offset:3276
	ds_write2_b32 v20, v18, v19 offset0:3 offset1:198
	ds_write2_b32 v21, v4, v12 offset0:9 offset1:204
	;; [unrolled: 1-line block ×3, first 2 shown]
	v_pack_b32_f16 v1, v50, v48
	v_pack_b32_f16 v3, v37, v55
	v_add_nc_u32_e32 v4, 0x300, v70
	v_pack_b32_f16 v5, v5, v11
	v_pack_b32_f16 v11, v38, v67
	v_add_nc_u32_e32 v12, 0x900, v70
	v_pack_b32_f16 v15, v15, v58
	v_pack_b32_f16 v13, v32, v17
	;; [unrolled: 1-line block ×4, first 2 shown]
	v_add_nc_u32_e32 v17, 0x300, v69
	v_pack_b32_f16 v0, v0, v10
	v_pack_b32_f16 v10, v34, v53
	v_add_nc_u32_e32 v18, 0x900, v69
	ds_write2_b32 v4, v1, v3 offset0:3 offset1:198
	ds_write2_b32 v12, v5, v11 offset0:9 offset1:204
	;; [unrolled: 1-line block ×5, first 2 shown]
	s_waitcnt lgkmcnt(0)
	s_barrier
	buffer_gl0_inv
	ds_read2_b32 v[0:1], v90 offset1:75
	s_waitcnt lgkmcnt(0)
	v_lshrrev_b32_e32 v5, 16, v0
	v_lshrrev_b32_e32 v17, 16, v1
	v_mul_f16_sdwa v3, v103, v5 dst_sel:DWORD dst_unused:UNUSED_PAD src0_sel:WORD_1 src1_sel:DWORD
	v_fmac_f16_e32 v3, v103, v0
	v_mul_f16_sdwa v0, v103, v0 dst_sel:DWORD dst_unused:UNUSED_PAD src0_sel:WORD_1 src1_sel:DWORD
	v_cvt_f32_f16_e32 v3, v3
	v_fma_f16 v0, v103, v5, -v0
	v_cvt_f64_f32_e32 v[3:4], v3
	v_cvt_f32_f16_e32 v0, v0
	v_cvt_f64_f32_e32 v[10:11], v0
	v_mul_f64 v[3:4], v[3:4], s[4:5]
	v_mul_f64 v[10:11], v[10:11], s[4:5]
	v_and_or_b32 v0, 0x1ff, v4, v3
	v_lshrrev_b32_e32 v3, 8, v4
	v_bfe_u32 v5, v4, 20, 11
	v_cmp_ne_u32_e64 s0, 0, v0
	v_and_or_b32 v10, 0x1ff, v11, v10
	v_lshrrev_b32_e32 v14, 8, v11
	v_bfe_u32 v16, v11, 20, 11
	v_cndmask_b32_e64 v0, 0, 1, s0
	v_cmp_ne_u32_e64 s0, 0, v10
	v_add_nc_u32_e32 v22, 0xfffffc10, v16
	v_and_or_b32 v3, 0xffe, v3, v0
	v_sub_nc_u32_e32 v0, 0x3f1, v5
	v_cndmask_b32_e64 v10, 0, 1, s0
	v_add_nc_u32_e32 v5, 0xfffffc10, v5
	v_cmp_gt_i32_e64 s2, 1, v22
	v_or_b32_e32 v12, 0x1000, v3
	v_med3_i32 v0, v0, 0, 13
	v_and_or_b32 v10, 0xffe, v14, v10
	v_sub_nc_u32_e32 v14, 0x3f1, v16
	v_lshrrev_b32_e32 v13, v0, v12
	v_or_b32_e32 v18, 0x1000, v10
	v_lshl_or_b32 v16, v22, 12, v10
	v_lshlrev_b32_e32 v0, v0, v13
	v_cmp_ne_u32_e64 s0, v0, v12
	v_med3_i32 v12, v14, 0, 13
	v_mul_f16_sdwa v14, v102, v17 dst_sel:DWORD dst_unused:UNUSED_PAD src0_sel:WORD_1 src1_sel:DWORD
	v_cndmask_b32_e64 v0, 0, 1, s0
	v_lshrrev_b32_e32 v19, v12, v18
	v_cmp_gt_i32_e64 s0, 1, v5
	v_fmac_f16_e32 v14, v102, v1
	v_mul_f16_sdwa v1, v102, v1 dst_sel:DWORD dst_unused:UNUSED_PAD src0_sel:WORD_1 src1_sel:DWORD
	v_or_b32_e32 v0, v13, v0
	v_lshl_or_b32 v13, v5, 12, v3
	v_cvt_f32_f16_e32 v14, v14
	v_fma_f16 v1, v102, v17, -v1
	v_cndmask_b32_e64 v20, v13, v0, s0
	v_lshlrev_b32_e32 v0, v12, v19
	v_cvt_f64_f32_e32 v[14:15], v14
	v_mad_u64_u32 v[12:13], null, s10, v46, 0
	v_and_b32_e32 v21, 7, v20
	v_cmp_ne_u32_e64 s0, v0, v18
	v_cvt_f32_f16_e32 v1, v1
	v_cmp_eq_u32_e64 s1, 3, v21
	v_cndmask_b32_e64 v18, 0, 1, s0
	v_cmp_lt_i32_e64 s0, 5, v21
	v_mov_b32_e32 v0, v13
	v_or_b32_e32 v13, v19, v18
	v_lshrrev_b32_e32 v18, 2, v20
	s_or_b32 s0, s1, s0
	v_cndmask_b32_e64 v19, v16, v13, s2
	v_add_co_ci_u32_e64 v16, s0, 0, v18, s0
	v_cmp_ne_u32_e64 s0, 0, v3
	v_mul_f64 v[13:14], v[14:15], s[4:5]
	v_and_b32_e32 v17, 7, v19
	v_cmp_eq_u32_e64 s2, 0x40f, v5
	v_cndmask_b32_e64 v3, 0, 1, s0
	v_cmp_gt_i32_e64 s0, 31, v5
	v_cmp_eq_u32_e64 s1, 3, v17
	v_lshl_or_b32 v3, v3, 9, 0x7c00
	v_cndmask_b32_e64 v18, 0x7c00, v16, s0
	v_cvt_f64_f32_e32 v[15:16], v1
	v_cmp_lt_i32_e64 s0, 5, v17
	v_lshrrev_b32_e32 v1, 2, v19
	v_lshrrev_b32_e32 v17, 16, v4
	v_cndmask_b32_e64 v5, v18, v3, s2
	ds_read2_b32 v[3:4], v90 offset0:150 offset1:225
	s_or_b32 s0, s1, s0
	v_add_co_ci_u32_e64 v18, s0, 0, v1, s0
	v_cmp_ne_u32_e64 s0, 0, v10
	v_mad_u64_u32 v[0:1], null, s11, v46, v[0:1]
	v_and_or_b32 v13, 0x1ff, v14, v13
	v_and_or_b32 v5, 0x8000, v17, v5
	v_cndmask_b32_e64 v10, 0, 1, s0
	v_cmp_gt_i32_e64 s0, 31, v22
	v_bfe_u32 v20, v14, 20, 11
	v_and_b32_e32 v5, 0xffff, v5
	v_lshl_or_b32 v10, v10, 9, 0x7c00
	v_cndmask_b32_e64 v1, 0x7c00, v18, s0
	v_cmp_eq_u32_e64 s0, 0x40f, v22
	v_mul_f64 v[15:16], v[15:16], s[4:5]
	v_mad_u64_u32 v[17:18], null, s8, v44, 0
	s_waitcnt lgkmcnt(0)
	v_lshrrev_b32_e32 v21, 16, v3
	v_cndmask_b32_e64 v19, v1, v10, s0
	v_cmp_ne_u32_e64 s0, 0, v13
	v_lshrrev_b32_e32 v13, 8, v14
	v_lshrrev_b32_e32 v22, 16, v11
	v_mov_b32_e32 v1, v18
	v_cndmask_b32_e64 v10, 0, 1, s0
	v_mul_f16_sdwa v18, v101, v21 dst_sel:DWORD dst_unused:UNUSED_PAD src0_sel:WORD_1 src1_sel:DWORD
	v_and_or_b32 v23, 0xffe, v13, v10
	v_sub_nc_u32_e32 v13, 0x3f1, v20
	v_mad_u64_u32 v[10:11], null, s9, v44, v[1:2]
	v_fmac_f16_e32 v18, v101, v3
	v_or_b32_e32 v11, 0x1000, v23
	v_med3_i32 v1, v13, 0, 13
	v_mov_b32_e32 v13, v0
	v_and_or_b32 v0, 0x8000, v22, v19
	v_and_or_b32 v15, 0x1ff, v16, v15
	v_cvt_f32_f16_e32 v22, v18
	v_lshrrev_b32_e32 v19, v1, v11
	v_mov_b32_e32 v18, v10
	v_lshl_or_b32 v5, v0, 16, v5
	v_cmp_ne_u32_e64 s0, 0, v15
	v_bfe_u32 v24, v16, 20, 11
	v_lshlrev_b32_e32 v10, v1, v19
	v_cvt_f64_f32_e32 v[0:1], v22
	v_lshrrev_b32_e32 v22, 8, v16
	v_cndmask_b32_e64 v15, 0, 1, s0
	v_add_nc_u32_e32 v20, 0xfffffc10, v20
	v_cmp_ne_u32_e64 s0, v10, v11
	v_lshlrev_b64 v[10:11], 2, v[12:13]
	v_mul_f16_sdwa v3, v101, v3 dst_sel:DWORD dst_unused:UNUSED_PAD src0_sel:WORD_1 src1_sel:DWORD
	v_and_or_b32 v15, 0xffe, v22, v15
	v_sub_nc_u32_e32 v22, 0x3f1, v24
	v_cndmask_b32_e64 v25, 0, 1, s0
	v_lshl_or_b32 v13, v20, 12, v23
	v_fma_f16 v3, v101, v21, -v3
	v_lshrrev_b32_e32 v16, 16, v16
	v_med3_i32 v22, v22, 0, 13
	v_or_b32_e32 v12, v19, v25
	v_or_b32_e32 v19, 0x1000, v15
	v_add_co_u32 v25, s0, s6, v10
	v_add_co_ci_u32_e64 v26, s0, s7, v11, s0
	v_lshrrev_b32_e32 v27, v22, v19
	v_cmp_gt_i32_e64 s0, 1, v20
	v_lshlrev_b64 v[10:11], 2, v[17:18]
	v_mul_f64 v[0:1], v[0:1], s[4:5]
	v_add_nc_u32_e32 v18, 0xfffffc10, v24
	v_cvt_f32_f16_e32 v3, v3
	v_cndmask_b32_e64 v12, v13, v12, s0
	v_lshlrev_b32_e32 v13, v22, v27
	v_add_co_u32 v10, s0, v25, v10
	v_add_co_ci_u32_e64 v11, s0, v26, v11, s0
	v_cmp_ne_u32_e64 s0, v13, v19
	v_and_b32_e32 v17, 7, v12
	v_lshl_or_b32 v19, v18, 12, v15
	global_store_dword v[10:11], v5, off
	v_cmp_gt_i32_e64 s2, 1, v18
	v_cndmask_b32_e64 v13, 0, 1, s0
	v_cmp_lt_i32_e64 s0, 5, v17
	v_cmp_eq_u32_e64 s1, 3, v17
	v_lshrrev_b32_e32 v17, 2, v12
	v_or_b32_e32 v5, v27, v13
	v_cvt_f64_f32_e32 v[12:13], v3
	s_or_b32 s0, s1, s0
	v_and_or_b32 v0, 0x1ff, v1, v0
	v_lshrrev_b32_e32 v21, 8, v1
	v_cndmask_b32_e64 v3, v19, v5, s2
	v_add_co_ci_u32_e64 v5, s0, 0, v17, s0
	v_cmp_ne_u32_e64 s0, 0, v23
	v_bfe_u32 v22, v1, 20, 11
	v_and_b32_e32 v19, 7, v3
	v_lshrrev_b32_e32 v3, 2, v3
	s_mul_i32 s2, s9, 0x4b
	v_cndmask_b32_e64 v17, 0, 1, s0
	v_cmp_ne_u32_e64 s0, 0, v0
	v_cmp_eq_u32_e64 s1, 3, v19
	s_add_i32 s3, s3, s2
	s_mul_i32 s2, s8, 0x4b
	v_lshl_or_b32 v17, v17, 9, 0x7c00
	v_cndmask_b32_e64 v0, 0, 1, s0
	v_cmp_gt_i32_e64 s0, 31, v20
	s_lshl_b64 s[6:7], s[2:3], 2
	v_mul_f64 v[12:13], v[12:13], s[4:5]
	v_and_or_b32 v0, 0xffe, v21, v0
	v_cndmask_b32_e64 v5, 0x7c00, v5, s0
	v_cmp_lt_i32_e64 s0, 5, v19
	v_sub_nc_u32_e32 v21, 0x3f1, v22
	v_or_b32_e32 v19, 0x1000, v0
	s_or_b32 s0, s1, s0
	v_med3_i32 v21, v21, 0, 13
	v_add_co_ci_u32_e64 v3, s0, 0, v3, s0
	v_cmp_ne_u32_e64 s0, 0, v15
	v_lshrrev_b32_e32 v23, v21, v19
	v_cndmask_b32_e64 v15, 0, 1, s0
	v_cmp_eq_u32_e64 s0, 0x40f, v20
	v_lshrrev_b32_e32 v20, 16, v14
	v_lshl_or_b32 v15, v15, 9, 0x7c00
	v_cndmask_b32_e64 v5, v5, v17, s0
	v_cmp_gt_i32_e64 s0, 31, v18
	v_lshlrev_b32_e32 v17, v21, v23
	v_lshrrev_b32_e32 v21, 16, v4
	v_and_or_b32 v12, 0x1ff, v13, v12
	v_and_or_b32 v5, 0x8000, v20, v5
	v_cndmask_b32_e64 v3, 0x7c00, v3, s0
	v_cmp_eq_u32_e64 s0, 0x40f, v18
	v_and_b32_e32 v5, 0xffff, v5
	v_cndmask_b32_e64 v3, v3, v15, s0
	v_cmp_ne_u32_e64 s0, v17, v19
	v_mul_f16_sdwa v15, v100, v21 dst_sel:DWORD dst_unused:UNUSED_PAD src0_sel:WORD_1 src1_sel:DWORD
	v_add_nc_u32_e32 v17, 0xfffffc10, v22
	v_lshrrev_b32_e32 v19, 8, v13
	v_bfe_u32 v22, v13, 20, 11
	v_cndmask_b32_e64 v14, 0, 1, s0
	v_cmp_ne_u32_e64 s0, 0, v12
	v_fmac_f16_e32 v15, v100, v4
	v_lshl_or_b32 v18, v17, 12, v0
	v_and_or_b32 v16, 0x8000, v16, v3
	v_or_b32_e32 v14, v23, v14
	v_cndmask_b32_e64 v12, 0, 1, s0
	v_cvt_f32_f16_e32 v15, v15
	v_cmp_gt_i32_e64 s0, 1, v17
	v_mul_f16_sdwa v4, v100, v4 dst_sel:DWORD dst_unused:UNUSED_PAD src0_sel:WORD_1 src1_sel:DWORD
	v_lshl_or_b32 v5, v16, 16, v5
	v_and_or_b32 v12, 0xffe, v19, v12
	v_sub_nc_u32_e32 v19, 0x3f1, v22
	v_cndmask_b32_e64 v18, v18, v14, s0
	v_cvt_f64_f32_e32 v[14:15], v15
	v_fma_f16 v4, v100, v21, -v4
	v_or_b32_e32 v20, 0x1000, v12
	v_med3_i32 v19, v19, 0, 13
	v_and_b32_e32 v3, 7, v18
	v_lshrrev_b32_e32 v13, 16, v13
	v_cvt_f32_f16_e32 v21, v4
	v_lshrrev_b32_e32 v23, v19, v20
	v_cmp_lt_i32_e64 s0, 5, v3
	v_cmp_eq_u32_e64 s1, 3, v3
	v_lshrrev_b32_e32 v3, 2, v18
	v_lshlrev_b32_e32 v18, v19, v23
	s_or_b32 s0, s1, s0
	v_add_co_ci_u32_e64 v19, s0, 0, v3, s0
	v_cmp_ne_u32_e64 s0, v18, v20
	v_add_nc_u32_e32 v20, 0xfffffc10, v22
	v_mul_f64 v[3:4], v[14:15], s[4:5]
	v_cvt_f64_f32_e32 v[14:15], v21
	v_cndmask_b32_e64 v18, 0, 1, s0
	v_cmp_ne_u32_e64 s0, 0, v0
	v_lshl_or_b32 v21, v20, 12, v12
	v_or_b32_e32 v18, v23, v18
	v_cndmask_b32_e64 v0, 0, 1, s0
	v_cmp_gt_i32_e64 s0, 31, v17
	v_lshl_or_b32 v0, v0, 9, 0x7c00
	v_cndmask_b32_e64 v19, 0x7c00, v19, s0
	v_cmp_gt_i32_e64 s0, 1, v20
	v_cndmask_b32_e64 v18, v21, v18, s0
	v_cmp_eq_u32_e64 s0, 0x40f, v17
	v_and_or_b32 v3, 0x1ff, v4, v3
	v_mul_f64 v[14:15], v[14:15], s[4:5]
	v_and_b32_e32 v21, 7, v18
	v_cndmask_b32_e64 v17, v19, v0, s0
	v_lshrrev_b32_e32 v19, 16, v1
	ds_read2_b32 v[0:1], v8 offset0:44 offset1:119
	v_cmp_ne_u32_e64 s2, 0, v3
	v_cmp_lt_i32_e64 s0, 5, v21
	v_cmp_eq_u32_e64 s1, 3, v21
	v_lshrrev_b32_e32 v16, 2, v18
	v_and_or_b32 v19, 0x8000, v19, v17
	v_cndmask_b32_e64 v3, 0, 1, s2
	v_lshrrev_b32_e32 v17, 8, v4
	v_bfe_u32 v18, v4, 20, 11
	s_or_b32 s0, s1, s0
	v_add_co_ci_u32_e64 v16, s0, 0, v16, s0
	v_and_or_b32 v3, 0xffe, v17, v3
	v_sub_nc_u32_e32 v17, 0x3f1, v18
	v_cmp_ne_u32_e64 s0, 0, v12
	v_and_or_b32 v14, 0x1ff, v15, v14
	v_or_b32_e32 v22, 0x1000, v3
	v_med3_i32 v17, v17, 0, 13
	s_waitcnt lgkmcnt(0)
	v_lshrrev_b32_e32 v21, 16, v0
	v_cndmask_b32_e64 v12, 0, 1, s0
	v_cmp_gt_i32_e64 s0, 31, v20
	v_bfe_u32 v25, v15, 20, 11
	v_lshrrev_b32_e32 v24, v17, v22
	v_mul_f16_sdwa v23, v99, v21 dst_sel:DWORD dst_unused:UNUSED_PAD src0_sel:WORD_1 src1_sel:DWORD
	v_lshl_or_b32 v12, v12, 9, 0x7c00
	v_cndmask_b32_e64 v16, 0x7c00, v16, s0
	v_cmp_eq_u32_e64 s0, 0x40f, v20
	v_lshlrev_b32_e32 v20, v17, v24
	v_fmac_f16_e32 v23, v99, v0
	v_mul_f16_sdwa v0, v99, v0 dst_sel:DWORD dst_unused:UNUSED_PAD src0_sel:WORD_1 src1_sel:DWORD
	v_cndmask_b32_e64 v12, v16, v12, s0
	v_cmp_ne_u32_e64 s0, 0, v14
	v_cvt_f32_f16_e32 v16, v23
	v_lshrrev_b32_e32 v23, 8, v15
	v_fma_f16 v0, v99, v21, -v0
	v_and_or_b32 v12, 0x8000, v13, v12
	v_cndmask_b32_e64 v14, 0, 1, s0
	v_cmp_ne_u32_e64 s0, v20, v22
	v_cvt_f64_f32_e32 v[16:17], v16
	v_add_nc_u32_e32 v22, 0xfffffc10, v18
	v_sub_nc_u32_e32 v18, 0x3f1, v25
	v_and_or_b32 v14, 0xffe, v23, v14
	v_cndmask_b32_e64 v20, 0, 1, s0
	v_and_b32_e32 v13, 0xffff, v19
	v_lshl_or_b32 v23, v22, 12, v3
	v_med3_i32 v18, v18, 0, 13
	v_cmp_gt_i32_e64 s0, 1, v22
	v_or_b32_e32 v20, v24, v20
	v_or_b32_e32 v24, 0x1000, v14
	v_cvt_f32_f16_e32 v0, v0
	v_add_nc_u32_e32 v21, 0xfffffc10, v25
	v_cndmask_b32_e64 v19, v23, v20, s0
	v_lshrrev_b32_e32 v20, v18, v24
	v_add_co_u32 v10, s0, v10, s6
	v_add_co_ci_u32_e64 v11, s0, s7, v11, s0
	v_lshlrev_b32_e32 v18, v18, v20
	v_and_b32_e32 v26, 7, v19
	v_lshl_or_b32 v23, v12, 16, v13
	v_mul_f64 v[12:13], v[16:17], s[4:5]
	v_add_co_u32 v16, s0, v10, s6
	v_cmp_ne_u32_e64 s1, v18, v24
	v_add_co_ci_u32_e64 v17, s0, s7, v11, s0
	v_cmp_lt_i32_e64 s0, 5, v26
	v_lshrrev_b32_e32 v24, 2, v19
	v_cndmask_b32_e64 v18, 0, 1, s1
	v_cmp_eq_u32_e64 s1, 3, v26
	v_lshl_or_b32 v25, v21, 12, v14
	global_store_dword v[10:11], v5, off
	global_store_dword v[16:17], v23, off
	v_or_b32_e32 v20, v20, v18
	s_or_b32 s0, s1, s0
	v_cvt_f64_f32_e32 v[18:19], v0
	v_add_co_ci_u32_e64 v0, s0, 0, v24, s0
	v_cmp_ne_u32_e64 s0, 0, v3
	v_and_or_b32 v12, 0x1ff, v13, v12
	v_cndmask_b32_e64 v3, 0, 1, s0
	v_cmp_gt_i32_e64 s0, 1, v21
	v_bfe_u32 v26, v13, 20, 11
	v_lshl_or_b32 v3, v3, 9, 0x7c00
	v_cndmask_b32_e64 v20, v25, v20, s0
	v_cmp_gt_i32_e64 s0, 31, v22
	v_lshrrev_b32_e32 v25, 8, v13
	v_and_b32_e32 v24, 7, v20
	v_cndmask_b32_e64 v0, 0x7c00, v0, s0
	v_cmp_ne_u32_e64 s0, 0, v12
	v_cmp_eq_u32_e64 s1, 3, v24
	v_cndmask_b32_e64 v12, 0, 1, s0
	v_cmp_eq_u32_e64 s0, 0x40f, v22
	v_lshrrev_b32_e32 v22, 16, v4
	v_and_or_b32 v12, 0xffe, v25, v12
	v_cndmask_b32_e64 v0, v0, v3, s0
	v_cmp_lt_i32_e64 s0, 5, v24
	v_mul_f64 v[3:4], v[18:19], s[4:5]
	v_lshrrev_b32_e32 v19, 2, v20
	v_sub_nc_u32_e32 v25, 0x3f1, v26
	v_or_b32_e32 v20, 0x1000, v12
	s_or_b32 s0, s1, s0
	v_lshrrev_b32_e32 v18, 16, v1
	v_add_co_ci_u32_e64 v19, s0, 0, v19, s0
	v_med3_i32 v24, v25, 0, 13
	v_cmp_ne_u32_e64 s0, 0, v14
	v_mul_f16_sdwa v25, v98, v18 dst_sel:DWORD dst_unused:UNUSED_PAD src0_sel:WORD_1 src1_sel:DWORD
	v_and_or_b32 v0, 0x8000, v22, v0
	v_lshrrev_b32_e32 v27, v24, v20
	v_cndmask_b32_e64 v14, 0, 1, s0
	v_cmp_gt_i32_e64 s0, 31, v21
	v_fmac_f16_e32 v25, v98, v1
	v_and_b32_e32 v0, 0xffff, v0
	v_lshlrev_b32_e32 v22, v24, v27
	v_lshl_or_b32 v14, v14, 9, 0x7c00
	v_cndmask_b32_e64 v19, 0x7c00, v19, s0
	v_cmp_eq_u32_e64 s0, 0x40f, v21
	v_and_or_b32 v3, 0x1ff, v4, v3
	v_cvt_f32_f16_e32 v24, v25
	v_lshrrev_b32_e32 v21, 16, v15
	v_bfe_u32 v25, v4, 20, 11
	v_cndmask_b32_e64 v19, v19, v14, s0
	v_cmp_ne_u32_e64 s0, v22, v20
	v_cvt_f64_f32_e32 v[14:15], v24
	v_add_nc_u32_e32 v22, 0xfffffc10, v26
	v_lshrrev_b32_e32 v24, 8, v4
	v_and_or_b32 v19, 0x8000, v21, v19
	v_cndmask_b32_e64 v20, 0, 1, s0
	v_cmp_ne_u32_e64 s0, 0, v3
	v_lshl_or_b32 v21, v22, 12, v12
	v_lshl_or_b32 v5, v19, 16, v0
	v_or_b32_e32 v20, v27, v20
	v_cndmask_b32_e64 v3, 0, 1, s0
	v_cmp_gt_i32_e64 s0, 1, v22
	v_and_or_b32 v3, 0xffe, v24, v3
	v_sub_nc_u32_e32 v24, 0x3f1, v25
	v_cndmask_b32_e64 v20, v21, v20, s0
	v_add_co_u32 v0, s0, v16, s6
	v_or_b32_e32 v21, 0x1000, v3
	v_med3_i32 v24, v24, 0, 13
	v_and_b32_e32 v19, 7, v20
	v_mul_f64 v[10:11], v[14:15], s[4:5]
	v_mul_f16_sdwa v14, v98, v1 dst_sel:DWORD dst_unused:UNUSED_PAD src0_sel:WORD_1 src1_sel:DWORD
	v_add_co_ci_u32_e64 v1, s0, s7, v17, s0
	v_lshrrev_b32_e32 v23, v24, v21
	v_cmp_lt_i32_e64 s0, 5, v19
	v_cmp_eq_u32_e64 s1, 3, v19
	v_fma_f16 v14, v98, v18, -v14
	v_lshrrev_b32_e32 v16, 2, v20
	v_lshlrev_b32_e32 v15, v24, v23
	v_add_nc_u32_e32 v18, 0xfffffc10, v25
	s_or_b32 s0, s1, s0
	v_cvt_f32_f16_e32 v14, v14
	v_add_co_ci_u32_e64 v19, s0, 0, v16, s0
	v_cmp_ne_u32_e64 s2, v15, v21
	v_cmp_ne_u32_e64 s0, 0, v12
	v_lshl_or_b32 v21, v18, 12, v3
	ds_read2_b32 v[16:17], v2 offset0:66 offset1:141
	global_store_dword v[0:1], v5, off
	v_cndmask_b32_e64 v15, 0, 1, s2
	v_cndmask_b32_e64 v12, 0, 1, s0
	v_cmp_gt_i32_e64 s0, 1, v18
	v_and_or_b32 v10, 0x1ff, v11, v10
	v_bfe_u32 v24, v11, 20, 11
	v_or_b32_e32 v20, v23, v15
	v_cvt_f64_f32_e32 v[14:15], v14
	v_lshl_or_b32 v12, v12, 9, 0x7c00
	v_lshrrev_b32_e32 v23, 8, v11
	v_lshrrev_b32_e32 v11, 16, v11
	v_cndmask_b32_e64 v20, v21, v20, s0
	v_cmp_gt_i32_e64 s0, 31, v22
	v_and_b32_e32 v21, 7, v20
	v_cndmask_b32_e64 v19, 0x7c00, v19, s0
	v_cmp_ne_u32_e64 s0, 0, v10
	s_waitcnt lgkmcnt(0)
	v_mul_f16_sdwa v5, v97, v16 dst_sel:DWORD dst_unused:UNUSED_PAD src0_sel:WORD_1 src1_sel:DWORD
	v_cmp_eq_u32_e64 s1, 3, v21
	v_cndmask_b32_e64 v10, 0, 1, s0
	v_cmp_eq_u32_e64 s0, 0x40f, v22
	v_lshrrev_b32_e32 v22, 16, v13
	v_and_or_b32 v10, 0xffe, v23, v10
	v_cndmask_b32_e64 v19, v19, v12, s0
	v_cmp_lt_i32_e64 s0, 5, v21
	v_mul_f64 v[12:13], v[14:15], s[4:5]
	v_lshrrev_b32_e32 v15, 2, v20
	v_sub_nc_u32_e32 v23, 0x3f1, v24
	v_lshrrev_b32_e32 v14, 16, v16
	s_or_b32 s0, s1, s0
	v_or_b32_e32 v20, 0x1000, v10
	v_add_co_ci_u32_e64 v15, s0, 0, v15, s0
	v_med3_i32 v21, v23, 0, 13
	v_cmp_ne_u32_e64 s0, 0, v3
	v_mul_f16_sdwa v23, v97, v14 dst_sel:DWORD dst_unused:UNUSED_PAD src0_sel:WORD_1 src1_sel:DWORD
	v_and_or_b32 v19, 0x8000, v22, v19
	v_fma_f16 v5, v97, v14, -v5
	v_lshrrev_b32_e32 v25, v21, v20
	v_cndmask_b32_e64 v3, 0, 1, s0
	v_cmp_gt_i32_e64 s0, 31, v18
	v_fmac_f16_e32 v23, v97, v16
	v_and_b32_e32 v19, 0xffff, v19
	v_lshlrev_b32_e32 v21, v21, v25
	v_lshl_or_b32 v3, v3, 9, 0x7c00
	v_cndmask_b32_e64 v15, 0x7c00, v15, s0
	v_cmp_eq_u32_e64 s0, 0x40f, v18
	v_cvt_f32_f16_e32 v22, v23
	v_and_or_b32 v12, 0x1ff, v13, v12
	v_lshrrev_b32_e32 v18, 16, v4
	v_bfe_u32 v23, v13, 20, 11
	v_cndmask_b32_e64 v15, v15, v3, s0
	v_cmp_ne_u32_e64 s0, v21, v20
	v_cvt_f64_f32_e32 v[3:4], v22
	v_add_nc_u32_e32 v21, 0xfffffc10, v24
	v_lshrrev_b32_e32 v22, 8, v13
	v_and_or_b32 v15, 0x8000, v18, v15
	v_cndmask_b32_e64 v20, 0, 1, s0
	v_cmp_ne_u32_e64 s0, 0, v12
	v_cvt_f32_f16_e32 v5, v5
	v_lshrrev_b32_e32 v13, 16, v13
	v_lshl_or_b32 v16, v15, 16, v19
	v_or_b32_e32 v18, v25, v20
	v_cndmask_b32_e64 v12, 0, 1, s0
	v_lshl_or_b32 v20, v21, 12, v10
	v_cmp_gt_i32_e64 s0, 1, v21
	v_and_or_b32 v12, 0xffe, v22, v12
	v_sub_nc_u32_e32 v22, 0x3f1, v23
	v_cndmask_b32_e64 v18, v20, v18, s0
	v_add_co_u32 v0, s0, v0, s6
	v_or_b32_e32 v20, 0x1000, v12
	v_med3_i32 v22, v22, 0, 13
	v_and_b32_e32 v15, 7, v18
	v_mul_f64 v[3:4], v[3:4], s[4:5]
	v_add_co_ci_u32_e64 v1, s0, s7, v1, s0
	v_lshrrev_b32_e32 v19, v22, v20
	v_cmp_lt_i32_e64 s0, 5, v15
	v_cmp_eq_u32_e64 s1, 3, v15
	v_lshrrev_b32_e32 v18, 2, v18
	global_store_dword v[0:1], v16, off
	v_lshlrev_b32_e32 v14, v22, v19
	v_add_nc_u32_e32 v22, 0xfffffc10, v23
	s_or_b32 s0, s1, s0
	v_lshrrev_b32_e32 v23, 16, v17
	v_cmp_ne_u32_e64 s2, v14, v20
	v_cvt_f64_f32_e32 v[14:15], v5
	v_add_co_ci_u32_e64 v5, s0, 0, v18, s0
	v_cmp_ne_u32_e64 s0, 0, v10
	v_cndmask_b32_e64 v20, 0, 1, s2
	v_cndmask_b32_e64 v10, 0, 1, s0
	v_cmp_gt_i32_e64 s0, 31, v21
	v_or_b32_e32 v18, v19, v20
	v_lshl_or_b32 v19, v22, 12, v12
	v_and_or_b32 v3, 0x1ff, v4, v3
	v_lshl_or_b32 v10, v10, 9, 0x7c00
	v_cndmask_b32_e64 v5, 0x7c00, v5, s0
	v_cmp_gt_i32_e64 s0, 1, v22
	v_bfe_u32 v20, v4, 20, 11
	v_cndmask_b32_e64 v18, v19, v18, s0
	v_cmp_ne_u32_e64 s0, 0, v3
	v_lshrrev_b32_e32 v19, 8, v4
	v_mul_f64 v[14:15], v[14:15], s[4:5]
	v_cndmask_b32_e64 v3, 0, 1, s0
	v_cmp_eq_u32_e64 s0, 0x40f, v21
	v_and_or_b32 v3, 0xffe, v19, v3
	v_cndmask_b32_e64 v5, v5, v10, s0
	v_and_b32_e32 v10, 7, v18
	v_sub_nc_u32_e32 v19, 0x3f1, v20
	v_add_nc_u32_e32 v20, 0xfffffc10, v20
	v_or_b32_e32 v21, 0x1000, v3
	v_and_or_b32 v5, 0x8000, v11, v5
	v_cmp_lt_i32_e64 s0, 5, v10
	v_cmp_eq_u32_e64 s1, 3, v10
	v_lshrrev_b32_e32 v10, 2, v18
	v_med3_i32 v19, v19, 0, 13
	v_mul_f16_sdwa v11, v96, v23 dst_sel:DWORD dst_unused:UNUSED_PAD src0_sel:WORD_1 src1_sel:DWORD
	v_and_b32_e32 v5, 0xffff, v5
	s_or_b32 s0, s1, s0
	v_and_or_b32 v14, 0x1ff, v15, v14
	v_add_co_ci_u32_e64 v10, s0, 0, v10, s0
	v_lshrrev_b32_e32 v18, v19, v21
	v_cmp_ne_u32_e64 s0, 0, v12
	v_fmac_f16_e32 v11, v96, v17
	v_bfe_u32 v25, v15, 20, 11
	v_mul_f16_sdwa v17, v96, v17 dst_sel:DWORD dst_unused:UNUSED_PAD src0_sel:WORD_1 src1_sel:DWORD
	v_lshlrev_b32_e32 v19, v19, v18
	v_cndmask_b32_e64 v12, 0, 1, s0
	v_cmp_gt_i32_e64 s0, 31, v22
	v_lshl_or_b32 v12, v12, 9, 0x7c00
	v_cndmask_b32_e64 v24, 0x7c00, v10, s0
	v_cmp_ne_u32_e64 s0, v19, v21
	v_cvt_f32_f16_e32 v10, v11
	v_lshrrev_b32_e32 v21, 8, v15
	v_lshrrev_b32_e32 v15, 16, v15
	v_cndmask_b32_e64 v19, 0, 1, s0
	v_cmp_ne_u32_e64 s0, 0, v14
	v_cvt_f64_f32_e32 v[10:11], v10
	v_or_b32_e32 v18, v18, v19
	v_cndmask_b32_e64 v14, 0, 1, s0
	v_cmp_eq_u32_e64 s0, 0x40f, v22
	v_lshl_or_b32 v19, v20, 12, v3
	v_and_or_b32 v14, 0xffe, v21, v14
	v_sub_nc_u32_e32 v21, 0x3f1, v25
	v_cndmask_b32_e64 v12, v24, v12, s0
	v_cmp_gt_i32_e64 s0, 1, v20
	v_or_b32_e32 v22, 0x1000, v14
	v_med3_i32 v21, v21, 0, 13
	v_and_or_b32 v12, 0x8000, v13, v12
	v_cndmask_b32_e64 v18, v19, v18, s0
	v_lshrrev_b32_e32 v13, v21, v22
	v_lshl_or_b32 v5, v12, 16, v5
	v_and_b32_e32 v16, 7, v18
	v_mul_f64 v[10:11], v[10:11], s[4:5]
	v_lshlrev_b32_e32 v12, v21, v13
	v_cmp_lt_i32_e64 s0, 5, v16
	v_cmp_eq_u32_e64 s1, 3, v16
	v_fma_f16 v16, v96, v23, -v17
	v_lshrrev_b32_e32 v17, 2, v18
	v_cmp_ne_u32_e64 s2, v12, v22
	v_add_nc_u32_e32 v18, 0xfffffc10, v25
	s_or_b32 s0, s1, s0
	v_cvt_f32_f16_e32 v16, v16
	v_add_co_ci_u32_e64 v19, s0, 0, v17, s0
	v_cndmask_b32_e64 v12, 0, 1, s2
	v_cmp_ne_u32_e64 s0, 0, v3
	v_lshl_or_b32 v21, v18, 12, v14
	v_or_b32_e32 v17, v13, v12
	v_cvt_f64_f32_e32 v[12:13], v16
	v_cndmask_b32_e64 v3, 0, 1, s0
	v_cmp_gt_i32_e64 s0, 1, v18
	v_and_or_b32 v10, 0x1ff, v11, v10
	v_lshrrev_b32_e32 v23, 8, v11
	v_bfe_u32 v24, v11, 20, 11
	v_lshl_or_b32 v3, v3, 9, 0x7c00
	v_cndmask_b32_e64 v21, v21, v17, s0
	v_cmp_gt_i32_e64 s0, 31, v20
	ds_read2_b32 v[16:17], v7 offset0:88 offset1:163
	v_and_b32_e32 v22, 7, v21
	v_cndmask_b32_e64 v19, 0x7c00, v19, s0
	v_cmp_ne_u32_e64 s0, 0, v10
	v_cmp_eq_u32_e64 s1, 3, v22
	v_cndmask_b32_e64 v10, 0, 1, s0
	v_cmp_eq_u32_e64 s0, 0x40f, v20
	v_lshrrev_b32_e32 v20, 16, v4
	v_and_or_b32 v10, 0xffe, v23, v10
	v_cndmask_b32_e64 v19, v19, v3, s0
	v_cmp_lt_i32_e64 s0, 5, v22
	v_mul_f64 v[3:4], v[12:13], s[4:5]
	v_lshrrev_b32_e32 v12, 2, v21
	v_sub_nc_u32_e32 v23, 0x3f1, v24
	v_or_b32_e32 v13, 0x1000, v10
	s_or_b32 s0, s1, s0
	s_waitcnt lgkmcnt(0)
	v_lshrrev_b32_e32 v22, 16, v16
	v_add_co_ci_u32_e64 v12, s0, 0, v12, s0
	v_med3_i32 v21, v23, 0, 13
	v_cmp_ne_u32_e64 s0, 0, v14
	v_mul_f16_sdwa v25, v95, v22 dst_sel:DWORD dst_unused:UNUSED_PAD src0_sel:WORD_1 src1_sel:DWORD
	v_and_or_b32 v19, 0x8000, v20, v19
	v_lshrrev_b32_e32 v23, v21, v13
	v_cndmask_b32_e64 v14, 0, 1, s0
	v_cmp_gt_i32_e64 s0, 31, v18
	v_fmac_f16_e32 v25, v95, v16
	v_and_b32_e32 v19, 0xffff, v19
	v_lshlrev_b32_e32 v20, v21, v23
	v_lshl_or_b32 v14, v14, 9, 0x7c00
	v_cndmask_b32_e64 v12, 0x7c00, v12, s0
	v_cmp_eq_u32_e64 s0, 0x40f, v18
	v_and_or_b32 v3, 0x1ff, v4, v3
	v_lshrrev_b32_e32 v21, 8, v4
	v_mul_f16_sdwa v16, v95, v16 dst_sel:DWORD dst_unused:UNUSED_PAD src0_sel:WORD_1 src1_sel:DWORD
	v_cndmask_b32_e64 v14, v12, v14, s0
	v_cmp_ne_u32_e64 s0, v20, v13
	v_cvt_f32_f16_e32 v12, v25
	v_add_nc_u32_e32 v20, 0xfffffc10, v24
	v_bfe_u32 v24, v4, 20, 11
	v_and_or_b32 v14, 0x8000, v15, v14
	v_cndmask_b32_e64 v18, 0, 1, s0
	v_cmp_ne_u32_e64 s0, 0, v3
	v_cvt_f64_f32_e32 v[12:13], v12
	v_fma_f16 v16, v95, v22, -v16
	v_lshl_or_b32 v25, v14, 16, v19
	v_or_b32_e32 v15, v23, v18
	v_cndmask_b32_e64 v3, 0, 1, s0
	v_lshl_or_b32 v18, v20, 12, v10
	v_cmp_gt_i32_e64 s0, 1, v20
	v_cvt_f32_f16_e32 v16, v16
	v_and_or_b32 v3, 0xffe, v21, v3
	v_sub_nc_u32_e32 v21, 0x3f1, v24
	v_cndmask_b32_e64 v18, v18, v15, s0
	v_add_co_u32 v0, s0, v0, s6
	v_or_b32_e32 v23, 0x1000, v3
	v_med3_i32 v21, v21, 0, 13
	v_add_co_ci_u32_e64 v1, s0, s7, v1, s0
	v_and_b32_e32 v19, 7, v18
	v_add_co_u32 v14, s0, v0, s6
	v_lshrrev_b32_e32 v26, v21, v23
	v_mul_f64 v[12:13], v[12:13], s[4:5]
	v_add_co_ci_u32_e64 v15, s0, s7, v1, s0
	v_cmp_lt_i32_e64 s0, 5, v19
	v_lshlrev_b32_e32 v21, v21, v26
	v_cmp_eq_u32_e64 s1, 3, v19
	v_lshrrev_b32_e32 v18, 2, v18
	v_cmp_ne_u32_e64 s2, v21, v23
	s_or_b32 s0, s1, s0
	v_add_nc_u32_e32 v21, 0xfffffc10, v24
	v_add_co_ci_u32_e64 v22, s0, 0, v18, s0
	v_cndmask_b32_e64 v19, 0, 1, s2
	v_cmp_ne_u32_e64 s0, 0, v10
	v_lshl_or_b32 v24, v21, 12, v3
	v_or_b32_e32 v23, v26, v19
	v_cndmask_b32_e64 v10, 0, 1, s0
	v_cmp_gt_i32_e64 s0, 1, v21
	v_cvt_f64_f32_e32 v[18:19], v16
	v_and_or_b32 v12, 0x1ff, v13, v12
	v_bfe_u32 v26, v13, 20, 11
	v_lshl_or_b32 v10, v10, 9, 0x7c00
	v_cndmask_b32_e64 v16, v24, v23, s0
	v_cmp_gt_i32_e64 s0, 31, v20
	v_lshrrev_b32_e32 v24, 8, v13
	v_and_b32_e32 v23, 7, v16
	v_cndmask_b32_e64 v22, 0x7c00, v22, s0
	v_cmp_ne_u32_e64 s0, 0, v12
	v_lshrrev_b32_e32 v16, 2, v16
	v_cmp_eq_u32_e64 s1, 3, v23
	v_cndmask_b32_e64 v12, 0, 1, s0
	v_cmp_eq_u32_e64 s0, 0x40f, v20
	v_and_or_b32 v12, 0xffe, v24, v12
	v_cndmask_b32_e64 v20, v22, v10, s0
	v_cmp_lt_i32_e64 s0, 5, v23
	v_sub_nc_u32_e32 v10, 0x3f1, v26
	v_lshrrev_b32_e32 v23, 16, v17
	v_lshrrev_b32_e32 v22, 16, v11
	v_or_b32_e32 v24, 0x1000, v12
	s_or_b32 s0, s1, s0
	v_med3_i32 v27, v10, 0, 13
	v_mul_f64 v[10:11], v[18:19], s[4:5]
	v_add_co_ci_u32_e64 v16, s0, 0, v16, s0
	v_mul_f16_sdwa v18, v94, v23 dst_sel:DWORD dst_unused:UNUSED_PAD src0_sel:WORD_1 src1_sel:DWORD
	v_cmp_ne_u32_e64 s0, 0, v3
	v_lshrrev_b32_e32 v19, v27, v24
	v_and_or_b32 v20, 0x8000, v22, v20
	v_fmac_f16_e32 v18, v94, v17
	v_cndmask_b32_e64 v3, 0, 1, s0
	v_cmp_gt_i32_e64 s0, 31, v21
	v_lshlrev_b32_e32 v22, v27, v19
	v_and_b32_e32 v20, 0xffff, v20
	v_cvt_f32_f16_e32 v18, v18
	v_lshl_or_b32 v3, v3, 9, 0x7c00
	v_cndmask_b32_e64 v16, 0x7c00, v16, s0
	v_cmp_eq_u32_e64 s0, 0x40f, v21
	v_lshrrev_b32_e32 v21, 16, v4
	v_cndmask_b32_e64 v16, v16, v3, s0
	v_cvt_f64_f32_e32 v[3:4], v18
	v_cmp_ne_u32_e64 s0, v22, v24
	v_and_or_b32 v10, 0x1ff, v11, v10
	v_add_nc_u32_e32 v22, 0xfffffc10, v26
	v_and_or_b32 v16, 0x8000, v21, v16
	v_lshrrev_b32_e32 v21, 8, v11
	v_cndmask_b32_e64 v18, 0, 1, s0
	v_cmp_ne_u32_e64 s0, 0, v10
	v_bfe_u32 v24, v11, 20, 11
	v_lshl_or_b32 v16, v16, 16, v20
	v_or_b32_e32 v18, v19, v18
	v_cndmask_b32_e64 v10, 0, 1, s0
	v_lshl_or_b32 v19, v22, 12, v12
	v_cmp_gt_i32_e64 s0, 1, v22
	v_and_or_b32 v10, 0xffe, v21, v10
	v_sub_nc_u32_e32 v21, 0x3f1, v24
	v_cndmask_b32_e64 v20, v19, v18, s0
	v_add_co_u32 v18, s0, v14, s6
	v_mul_f64 v[3:4], v[3:4], s[4:5]
	v_or_b32_e32 v26, 0x1000, v10
	v_med3_i32 v21, v21, 0, 13
	v_add_co_ci_u32_e64 v19, s0, s7, v15, s0
	v_and_b32_e32 v27, 7, v20
	global_store_dword v[0:1], v5, off
	global_store_dword v[14:15], v25, off
	;; [unrolled: 1-line block ×3, first 2 shown]
	v_lshrrev_b32_e32 v5, v21, v26
	v_lshrrev_b32_e32 v1, 2, v20
	v_mul_f16_sdwa v0, v94, v17 dst_sel:DWORD dst_unused:UNUSED_PAD src0_sel:WORD_1 src1_sel:DWORD
	v_cmp_lt_i32_e64 s0, 5, v27
	v_cmp_eq_u32_e64 s1, 3, v27
	v_lshlrev_b32_e32 v14, v21, v5
	v_add_nc_u32_e32 v15, 0xa00, v90
	v_fma_f16 v16, v94, v23, -v0
	s_or_b32 s0, s1, s0
	v_add_co_ci_u32_e64 v17, s0, 0, v1, s0
	v_cmp_ne_u32_e64 s0, v14, v26
	ds_read2_b32 v[0:1], v15 offset0:110 offset1:185
	v_and_or_b32 v3, 0x1ff, v4, v3
	v_cvt_f32_f16_e32 v14, v16
	v_add_nc_u32_e32 v16, 0xfffffc10, v24
	v_cndmask_b32_e64 v20, 0, 1, s0
	v_cmp_gt_i32_e64 s0, 31, v22
	v_lshrrev_b32_e32 v21, 8, v4
	v_cvt_f64_f32_e32 v[14:15], v14
	v_bfe_u32 v23, v4, 20, 11
	v_or_b32_e32 v5, v5, v20
	v_cndmask_b32_e64 v17, 0x7c00, v17, s0
	v_cmp_ne_u32_e64 s0, 0, v3
	v_lshl_or_b32 v20, v16, 12, v10
	v_cndmask_b32_e64 v3, 0, 1, s0
	v_cmp_ne_u32_e64 s0, 0, v12
	v_and_or_b32 v3, 0xffe, v21, v3
	v_cndmask_b32_e64 v12, 0, 1, s0
	v_cmp_gt_i32_e64 s0, 1, v16
	s_waitcnt lgkmcnt(0)
	v_lshrrev_b32_e32 v21, 16, v0
	v_or_b32_e32 v25, 0x1000, v3
	v_lshl_or_b32 v12, v12, 9, 0x7c00
	v_cndmask_b32_e64 v5, v20, v5, s0
	v_sub_nc_u32_e32 v20, 0x3f1, v23
	v_cmp_eq_u32_e64 s0, 0x40f, v22
	v_mul_f16_sdwa v26, v93, v21 dst_sel:DWORD dst_unused:UNUSED_PAD src0_sel:WORD_1 src1_sel:DWORD
	v_mul_f64 v[14:15], v[14:15], s[4:5]
	v_and_b32_e32 v24, 7, v5
	v_med3_i32 v20, v20, 0, 13
	v_cndmask_b32_e64 v17, v17, v12, s0
	v_lshrrev_b32_e32 v5, 2, v5
	v_fmac_f16_e32 v26, v93, v0
	v_cmp_lt_i32_e64 s0, 5, v24
	v_cmp_eq_u32_e64 s1, 3, v24
	v_lshrrev_b32_e32 v22, v20, v25
	v_lshrrev_b32_e32 v24, 16, v13
	v_cvt_f32_f16_e32 v12, v26
	v_add_nc_u32_e32 v23, 0xfffffc10, v23
	s_or_b32 s0, s1, s0
	v_lshlrev_b32_e32 v20, v20, v22
	v_add_co_ci_u32_e64 v5, s0, 0, v5, s0
	v_cmp_ne_u32_e64 s0, 0, v10
	v_cvt_f64_f32_e32 v[12:13], v12
	v_mul_f16_sdwa v0, v93, v0 dst_sel:DWORD dst_unused:UNUSED_PAD src0_sel:WORD_1 src1_sel:DWORD
	v_cndmask_b32_e64 v10, 0, 1, s0
	v_cmp_ne_u32_e64 s0, v20, v25
	v_and_or_b32 v14, 0x1ff, v15, v14
	v_lshrrev_b32_e32 v25, 16, v11
	v_fma_f16 v0, v93, v21, -v0
	v_lshl_or_b32 v10, v10, 9, 0x7c00
	v_cndmask_b32_e64 v20, 0, 1, s0
	v_cmp_gt_i32_e64 s0, 31, v16
	v_cvt_f32_f16_e32 v0, v0
	v_or_b32_e32 v20, v22, v20
	v_cndmask_b32_e64 v5, 0x7c00, v5, s0
	v_cmp_eq_u32_e64 s0, 0x40f, v16
	v_lshl_or_b32 v22, v23, 12, v3
	v_cndmask_b32_e64 v5, v5, v10, s0
	v_cmp_gt_i32_e64 s0, 1, v23
	v_mul_f64 v[10:11], v[12:13], s[4:5]
	v_and_or_b32 v13, 0x8000, v24, v17
	v_and_or_b32 v5, 0x8000, v25, v5
	v_cndmask_b32_e64 v16, v22, v20, s0
	v_cmp_ne_u32_e64 s0, 0, v14
	v_lshrrev_b32_e32 v20, 8, v15
	v_bfe_u32 v22, v15, 20, 11
	v_and_b32_e32 v13, 0xffff, v13
	v_and_b32_e32 v26, 7, v16
	v_cndmask_b32_e64 v14, 0, 1, s0
	v_lshrrev_b32_e32 v16, 2, v16
	v_sub_nc_u32_e32 v12, 0x3f1, v22
	v_lshl_or_b32 v5, v5, 16, v13
	v_cmp_lt_i32_e64 s0, 5, v26
	v_and_or_b32 v14, 0xffe, v20, v14
	v_cmp_eq_u32_e64 s1, 3, v26
	v_med3_i32 v12, v12, 0, 13
	v_lshrrev_b32_e32 v26, 16, v1
	v_or_b32_e32 v17, 0x1000, v14
	s_or_b32 s0, s1, s0
	v_and_or_b32 v10, 0x1ff, v11, v10
	v_add_co_ci_u32_e64 v16, s0, 0, v16, s0
	v_lshrrev_b32_e32 v20, v12, v17
	v_cmp_gt_i32_e64 s0, 31, v23
	v_lshrrev_b32_e32 v21, 8, v11
	v_lshlrev_b32_e32 v12, v12, v20
	v_cndmask_b32_e64 v16, 0x7c00, v16, s0
	v_cmp_ne_u32_e64 s0, v12, v17
	v_cvt_f64_f32_e32 v[12:13], v0
	v_add_nc_u32_e32 v0, 0xfffffc10, v22
	v_bfe_u32 v22, v11, 20, 11
	v_cndmask_b32_e64 v17, 0, 1, s0
	v_cmp_ne_u32_e64 s0, 0, v10
	v_or_b32_e32 v17, v20, v17
	v_cndmask_b32_e64 v10, 0, 1, s0
	v_cmp_ne_u32_e64 s0, 0, v3
	v_lshl_or_b32 v20, v0, 12, v14
	v_and_or_b32 v10, 0xffe, v21, v10
	v_cndmask_b32_e64 v3, 0, 1, s0
	v_cmp_gt_i32_e64 s0, 1, v0
	v_sub_nc_u32_e32 v21, 0x3f1, v22
	v_lshl_or_b32 v3, v3, 9, 0x7c00
	v_cndmask_b32_e64 v17, v20, v17, s0
	v_cmp_eq_u32_e64 s0, 0x40f, v23
	v_or_b32_e32 v20, 0x1000, v10
	v_med3_i32 v21, v21, 0, 13
	v_lshrrev_b32_e32 v23, 16, v4
	v_and_b32_e32 v24, 7, v17
	v_cndmask_b32_e64 v16, v16, v3, s0
	v_mul_f64 v[3:4], v[12:13], s[4:5]
	v_lshrrev_b32_e32 v25, v21, v20
	v_add_co_u32 v12, s0, v18, s6
	v_add_co_ci_u32_e64 v13, s0, s7, v19, s0
	v_mul_f16_sdwa v18, v92, v26 dst_sel:DWORD dst_unused:UNUSED_PAD src0_sel:WORD_1 src1_sel:DWORD
	v_and_or_b32 v19, 0x8000, v23, v16
	v_lshlrev_b32_e32 v16, v21, v25
	v_cmp_lt_i32_e64 s0, 5, v24
	v_cmp_eq_u32_e64 s1, 3, v24
	v_lshrrev_b32_e32 v17, 2, v17
	v_fmac_f16_e32 v18, v92, v1
	v_cmp_ne_u32_e64 s2, v16, v20
	v_add_nc_u32_e32 v20, 0xfffffc10, v22
	s_or_b32 s0, s1, s0
	v_mul_f16_sdwa v1, v92, v1 dst_sel:DWORD dst_unused:UNUSED_PAD src0_sel:WORD_1 src1_sel:DWORD
	v_add_co_ci_u32_e64 v21, s0, 0, v17, s0
	v_cndmask_b32_e64 v16, 0, 1, s2
	v_cvt_f32_f16_e32 v18, v18
	v_cmp_ne_u32_e64 s0, 0, v14
	v_and_or_b32 v3, 0x1ff, v4, v3
	v_bfe_u32 v23, v4, 20, 11
	v_or_b32_e32 v22, v25, v16
	v_cvt_f64_f32_e32 v[16:17], v18
	v_lshl_or_b32 v18, v20, 12, v10
	v_cndmask_b32_e64 v14, 0, 1, s0
	v_cmp_gt_i32_e64 s0, 1, v20
	v_fma_f16 v1, v92, v26, -v1
	v_lshl_or_b32 v14, v14, 9, 0x7c00
	v_cndmask_b32_e64 v18, v18, v22, s0
	v_cmp_ne_u32_e64 s0, 0, v3
	v_lshrrev_b32_e32 v22, 8, v4
	v_and_b32_e32 v24, 7, v18
	v_cndmask_b32_e64 v3, 0, 1, s0
	v_cmp_gt_i32_e64 s0, 31, v0
	v_cmp_eq_u32_e64 s1, 3, v24
	v_and_or_b32 v3, 0xffe, v22, v3
	v_cndmask_b32_e64 v21, 0x7c00, v21, s0
	v_cmp_eq_u32_e64 s0, 0x40f, v0
	v_lshrrev_b32_e32 v22, 16, v15
	v_or_b32_e32 v25, 0x1000, v3
	v_cndmask_b32_e64 v0, v21, v14, s0
	v_sub_nc_u32_e32 v21, 0x3f1, v23
	v_cmp_lt_i32_e64 s0, 5, v24
	v_mul_f64 v[14:15], v[16:17], s[4:5]
	v_lshrrev_b32_e32 v17, 2, v18
	v_and_or_b32 v0, 0x8000, v22, v0
	v_med3_i32 v16, v21, 0, 13
	s_or_b32 s0, s1, s0
	v_and_b32_e32 v18, 0xffff, v19
	v_add_co_ci_u32_e64 v17, s0, 0, v17, s0
	v_lshrrev_b32_e32 v19, v16, v25
	v_cmp_ne_u32_e64 s0, 0, v10
	v_lshl_or_b32 v18, v0, 16, v18
	ds_read_b32 v21, v90 offset:3600
	v_add_nc_u32_e32 v22, 0xfffffc10, v23
	v_lshlrev_b32_e32 v0, v16, v19
	v_cndmask_b32_e64 v10, 0, 1, s0
	v_cmp_gt_i32_e64 s0, 31, v20
	v_lshrrev_b32_e32 v23, 16, v11
	v_lshl_or_b32 v10, v10, 9, 0x7c00
	v_cndmask_b32_e64 v16, 0x7c00, v17, s0
	v_cmp_ne_u32_e64 s0, v0, v25
	v_and_or_b32 v14, 0x1ff, v15, v14
	v_lshl_or_b32 v17, v22, 12, v3
	v_cndmask_b32_e64 v0, 0, 1, s0
	v_cmp_eq_u32_e64 s0, 0x40f, v20
	v_bfe_u32 v20, v15, 20, 11
	v_cndmask_b32_e64 v16, v16, v10, s0
	v_cmp_ne_u32_e64 s0, 0, v14
	v_or_b32_e32 v10, v19, v0
	v_cvt_f32_f16_e32 v0, v1
	v_lshrrev_b32_e32 v19, 8, v15
	v_and_or_b32 v23, 0x8000, v23, v16
	v_cndmask_b32_e64 v14, 0, 1, s0
	v_cmp_gt_i32_e64 s0, 1, v22
	v_cvt_f64_f32_e32 v[0:1], v0
	v_lshrrev_b32_e32 v15, 16, v15
	v_and_or_b32 v14, 0xffe, v19, v14
	v_cndmask_b32_e64 v17, v17, v10, s0
	v_sub_nc_u32_e32 v10, 0x3f1, v20
	s_waitcnt lgkmcnt(0)
	v_lshrrev_b32_e32 v19, 16, v21
	v_add_nc_u32_e32 v20, 0xfffffc10, v20
	v_or_b32_e32 v25, 0x1000, v14
	v_and_b32_e32 v24, 7, v17
	v_med3_i32 v26, v10, 0, 13
	v_mul_f16_sdwa v27, v91, v19 dst_sel:DWORD dst_unused:UNUSED_PAD src0_sel:WORD_1 src1_sel:DWORD
	v_add_co_u32 v10, s0, v12, s6
	v_add_co_ci_u32_e64 v11, s0, s7, v13, s0
	v_lshrrev_b32_e32 v28, v26, v25
	v_fmac_f16_e32 v27, v91, v21
	v_cmp_lt_i32_e64 s0, 5, v24
	v_cmp_eq_u32_e64 s1, 3, v24
	v_lshrrev_b32_e32 v16, 2, v17
	v_lshlrev_b32_e32 v24, v26, v28
	v_cvt_f32_f16_e32 v17, v27
	v_mul_f64 v[0:1], v[0:1], s[4:5]
	s_or_b32 s0, s1, s0
	v_mul_f16_sdwa v21, v91, v21 dst_sel:DWORD dst_unused:UNUSED_PAD src0_sel:WORD_1 src1_sel:DWORD
	v_add_co_ci_u32_e64 v26, s0, 0, v16, s0
	v_cmp_ne_u32_e64 s0, v24, v25
	v_cvt_f64_f32_e32 v[16:17], v17
	v_lshl_or_b32 v25, v20, 12, v14
	v_fma_f16 v19, v91, v19, -v21
	v_cndmask_b32_e64 v24, 0, 1, s0
	v_cmp_ne_u32_e64 s0, 0, v3
	v_cvt_f32_f16_e32 v19, v19
	v_or_b32_e32 v24, v28, v24
	v_cndmask_b32_e64 v3, 0, 1, s0
	v_cmp_gt_i32_e64 s0, 31, v22
	v_lshl_or_b32 v3, v3, 9, 0x7c00
	v_cndmask_b32_e64 v21, 0x7c00, v26, s0
	v_cmp_gt_i32_e64 s0, 1, v20
	v_and_or_b32 v0, 0x1ff, v1, v0
	v_bfe_u32 v26, v1, 20, 11
	v_cndmask_b32_e64 v24, v25, v24, s0
	v_cmp_eq_u32_e64 s0, 0x40f, v22
	v_mul_f64 v[16:17], v[16:17], s[4:5]
	v_lshrrev_b32_e32 v22, 16, v4
	v_lshrrev_b32_e32 v25, 8, v1
	;; [unrolled: 1-line block ×3, first 2 shown]
	v_cndmask_b32_e64 v21, v21, v3, s0
	v_cvt_f64_f32_e32 v[3:4], v19
	v_cmp_ne_u32_e64 s0, 0, v0
	v_and_b32_e32 v19, 7, v24
	v_and_or_b32 v21, 0x8000, v22, v21
	v_and_b32_e32 v22, 0xffff, v23
	v_cndmask_b32_e64 v0, 0, 1, s0
	v_cmp_lt_i32_e64 s0, 5, v19
	v_cmp_eq_u32_e64 s1, 3, v19
	v_sub_nc_u32_e32 v23, 0x3f1, v26
	v_lshl_or_b32 v19, v21, 16, v22
	v_lshrrev_b32_e32 v21, 2, v24
	v_and_or_b32 v0, 0xffe, v25, v0
	s_or_b32 s0, s1, s0
	v_med3_i32 v23, v23, 0, 13
	v_add_co_ci_u32_e64 v21, s0, 0, v21, s0
	v_or_b32_e32 v22, 0x1000, v0
	v_cmp_ne_u32_e64 s0, 0, v14
	v_and_or_b32 v16, 0x1ff, v17, v16
	v_lshrrev_b32_e32 v25, 8, v17
	v_mul_f64 v[3:4], v[3:4], s[4:5]
	v_lshrrev_b32_e32 v24, v23, v22
	v_cndmask_b32_e64 v14, 0, 1, s0
	v_cmp_gt_i32_e64 s0, 31, v20
	v_bfe_u32 v27, v17, 20, 11
	v_lshrrev_b32_e32 v17, 16, v17
	v_lshlrev_b32_e32 v23, v23, v24
	v_lshl_or_b32 v14, v14, 9, 0x7c00
	v_cndmask_b32_e64 v21, 0x7c00, v21, s0
	v_cmp_ne_u32_e64 s0, 0, v16
	v_cndmask_b32_e64 v16, 0, 1, s0
	v_cmp_ne_u32_e64 s0, v23, v22
	v_add_nc_u32_e32 v23, 0xfffffc10, v26
	v_and_or_b32 v16, 0xffe, v25, v16
	v_cndmask_b32_e64 v22, 0, 1, s0
	v_sub_nc_u32_e32 v25, 0x3f1, v27
	v_cmp_eq_u32_e64 s0, 0x40f, v20
	v_and_or_b32 v3, 0x1ff, v4, v3
	v_bfe_u32 v26, v4, 20, 11
	v_or_b32_e32 v20, v24, v22
	v_or_b32_e32 v22, 0x1000, v16
	v_cndmask_b32_e64 v14, v21, v14, s0
	v_lshl_or_b32 v21, v23, 12, v0
	v_med3_i32 v24, v25, 0, 13
	v_cmp_gt_i32_e64 s0, 1, v23
	v_lshrrev_b32_e32 v25, 8, v4
	v_and_or_b32 v14, 0x8000, v15, v14
	v_sub_nc_u32_e32 v15, 0x3f1, v26
	v_cndmask_b32_e64 v20, v21, v20, s0
	v_lshrrev_b32_e32 v21, v24, v22
	v_cmp_ne_u32_e64 s0, 0, v3
	v_med3_i32 v15, v15, 0, 13
	v_and_b32_e32 v28, 7, v20
	v_lshlrev_b32_e32 v24, v24, v21
	v_cndmask_b32_e64 v3, 0, 1, s0
	v_lshrrev_b32_e32 v20, 2, v20
	v_cmp_lt_i32_e64 s0, 5, v28
	v_cmp_ne_u32_e64 s1, v24, v22
	v_and_or_b32 v3, 0xffe, v25, v3
	v_add_nc_u32_e32 v25, 0xfffffc10, v27
	v_cndmask_b32_e64 v22, 0, 1, s1
	v_cmp_eq_u32_e64 s1, 3, v28
	v_or_b32_e32 v24, 0x1000, v3
	v_lshl_or_b32 v27, v25, 12, v16
	v_or_b32_e32 v21, v21, v22
	s_or_b32 s0, s1, s0
	v_lshrrev_b32_e32 v22, v15, v24
	v_add_co_ci_u32_e64 v20, s0, 0, v20, s0
	v_cmp_gt_i32_e64 s0, 1, v25
	v_lshlrev_b32_e32 v15, v15, v22
	v_cndmask_b32_e64 v21, v27, v21, s0
	v_cmp_ne_u32_e64 s0, 0, v0
	v_cndmask_b32_e64 v0, 0, 1, s0
	v_cmp_ne_u32_e64 s0, v15, v24
	v_add_nc_u32_e32 v24, 0xfffffc10, v26
	v_and_b32_e32 v26, 7, v21
	v_lshl_or_b32 v0, v0, 9, 0x7c00
	v_cndmask_b32_e64 v15, 0, 1, s0
	v_cmp_gt_i32_e64 s0, 31, v23
	v_cmp_gt_i32_e64 s2, 1, v24
	v_cmp_eq_u32_e64 s1, 3, v26
	v_or_b32_e32 v15, v22, v15
	v_lshl_or_b32 v22, v24, 12, v3
	v_cndmask_b32_e64 v20, 0x7c00, v20, s0
	v_cmp_lt_i32_e64 s0, 5, v26
	v_cndmask_b32_e64 v15, v22, v15, s2
	v_cmp_eq_u32_e64 s2, 0x40f, v23
	s_or_b32 s0, s1, s0
	v_cndmask_b32_e64 v0, v20, v0, s2
	v_lshrrev_b32_e32 v20, 2, v21
	v_and_b32_e32 v21, 7, v15
	v_lshrrev_b32_e32 v15, 2, v15
	v_cmp_gt_i32_e64 s2, 31, v25
	v_and_or_b32 v0, 0x8000, v1, v0
	v_add_co_ci_u32_e64 v20, s0, 0, v20, s0
	v_cmp_ne_u32_e64 s0, 0, v16
	v_cmp_eq_u32_e64 s1, 3, v21
	v_and_b32_e32 v1, 0xffff, v14
	v_cndmask_b32_e64 v20, 0x7c00, v20, s2
	v_cndmask_b32_e64 v16, 0, 1, s0
	v_cmp_lt_i32_e64 s0, 5, v21
	v_lshl_or_b32 v16, v16, 9, 0x7c00
	s_or_b32 s0, s1, s0
	v_add_co_ci_u32_e64 v15, s0, 0, v15, s0
	v_cmp_ne_u32_e64 s0, 0, v3
	v_cndmask_b32_e64 v3, 0, 1, s0
	v_cmp_eq_u32_e64 s0, 0x40f, v25
	v_lshl_or_b32 v3, v3, 9, 0x7c00
	v_cndmask_b32_e64 v16, v20, v16, s0
	v_cmp_gt_i32_e64 s0, 31, v24
	v_and_or_b32 v14, 0x8000, v17, v16
	v_cndmask_b32_e64 v15, 0x7c00, v15, s0
	v_cmp_eq_u32_e64 s0, 0x40f, v24
	v_lshrrev_b32_e32 v16, 16, v4
	v_lshl_or_b32 v17, v0, 16, v1
	v_and_b32_e32 v1, 0xffff, v14
	v_cndmask_b32_e64 v15, v15, v3, s0
	v_add_co_u32 v3, s0, v10, s6
	v_add_co_ci_u32_e64 v4, s0, s7, v11, s0
	v_and_or_b32 v0, 0x8000, v16, v15
	v_add_co_u32 v14, s0, v3, s6
	v_add_co_ci_u32_e64 v15, s0, s7, v4, s0
	v_lshl_or_b32 v16, v0, 16, v1
	v_add_co_u32 v0, s0, v14, s6
	v_add_co_ci_u32_e64 v1, s0, s7, v15, s0
	global_store_dword v[12:13], v5, off
	global_store_dword v[10:11], v18, off
	;; [unrolled: 1-line block ×5, first 2 shown]
	s_and_b32 exec_lo, exec_lo, vcc_lo
	s_cbranch_execz .LBB0_23
; %bb.22:
	global_load_dword v5, v[42:43], off offset:156
	ds_read2_b32 v[3:4], v90 offset0:39 offset1:114
	v_mad_u64_u32 v[0:1], null, 0xfffff28c, s8, v[0:1]
	s_waitcnt lgkmcnt(0)
	v_lshrrev_b32_e32 v10, 16, v3
	s_waitcnt vmcnt(0)
	v_mul_f16_sdwa v11, v10, v5 dst_sel:DWORD dst_unused:UNUSED_PAD src0_sel:DWORD src1_sel:WORD_1
	v_mul_f16_sdwa v12, v3, v5 dst_sel:DWORD dst_unused:UNUSED_PAD src0_sel:DWORD src1_sel:WORD_1
	v_fmac_f16_e32 v11, v3, v5
	v_fma_f16 v3, v5, v10, -v12
	v_cvt_f32_f16_e32 v5, v11
	v_cvt_f32_f16_e32 v3, v3
	v_cvt_f64_f32_e32 v[10:11], v5
	v_cvt_f64_f32_e32 v[12:13], v3
	v_mul_f64 v[10:11], v[10:11], s[4:5]
	v_mul_f64 v[12:13], v[12:13], s[4:5]
	v_and_or_b32 v3, 0x1ff, v11, v10
	v_and_or_b32 v12, 0x1ff, v13, v12
	v_lshrrev_b32_e32 v5, 8, v11
	v_bfe_u32 v10, v11, 20, 11
	v_lshrrev_b32_e32 v14, 8, v13
	v_cmp_ne_u32_e32 vcc_lo, 0, v3
	v_bfe_u32 v15, v13, 20, 11
	v_lshrrev_b32_e32 v11, 16, v11
	v_sub_nc_u32_e32 v16, 0x3f1, v10
	v_add_nc_u32_e32 v10, 0xfffffc10, v10
	v_cndmask_b32_e64 v3, 0, 1, vcc_lo
	v_cmp_ne_u32_e32 vcc_lo, 0, v12
	v_and_or_b32 v3, 0xffe, v5, v3
	v_cndmask_b32_e64 v12, 0, 1, vcc_lo
	v_sub_nc_u32_e32 v5, 0x3f1, v15
	v_add_nc_u32_e32 v15, 0xfffffc10, v15
	v_and_or_b32 v12, 0xffe, v14, v12
	v_med3_i32 v14, v16, 0, 13
	v_or_b32_e32 v16, 0x1000, v3
	v_med3_i32 v5, v5, 0, 13
	v_or_b32_e32 v17, 0x1000, v12
	v_lshrrev_b32_e32 v18, v14, v16
	v_lshrrev_b32_e32 v19, v5, v17
	v_lshlrev_b32_e32 v14, v14, v18
	v_lshlrev_b32_e32 v5, v5, v19
	v_cmp_ne_u32_e32 vcc_lo, v14, v16
	v_lshl_or_b32 v16, v10, 12, v3
	v_cndmask_b32_e64 v14, 0, 1, vcc_lo
	v_cmp_ne_u32_e32 vcc_lo, v5, v17
	v_lshl_or_b32 v17, v15, 12, v12
	v_or_b32_e32 v14, v18, v14
	v_cndmask_b32_e64 v5, 0, 1, vcc_lo
	v_cmp_gt_i32_e32 vcc_lo, 1, v10
	v_or_b32_e32 v5, v19, v5
	v_cndmask_b32_e32 v14, v16, v14, vcc_lo
	v_cmp_gt_i32_e32 vcc_lo, 1, v15
	v_and_b32_e32 v16, 7, v14
	v_cndmask_b32_e32 v5, v17, v5, vcc_lo
	v_cmp_ne_u32_e32 vcc_lo, 0, v3
	v_lshrrev_b32_e32 v14, 2, v14
	v_cmp_eq_u32_e64 s0, 3, v16
	v_and_b32_e32 v17, 7, v5
	v_cndmask_b32_e64 v3, 0, 1, vcc_lo
	v_cmp_ne_u32_e32 vcc_lo, 0, v12
	v_lshrrev_b32_e32 v5, 2, v5
	v_cmp_lt_i32_e64 s1, 5, v17
	v_cmp_eq_u32_e64 s2, 3, v17
	v_cndmask_b32_e64 v12, 0, 1, vcc_lo
	v_cmp_lt_i32_e32 vcc_lo, 5, v16
	v_lshl_or_b32 v3, v3, 9, 0x7c00
	v_lshl_or_b32 v12, v12, 9, 0x7c00
	s_or_b32 vcc_lo, s0, vcc_lo
	s_mul_i32 s0, s9, 0xfffff28c
	v_add_co_ci_u32_e32 v14, vcc_lo, 0, v14, vcc_lo
	s_or_b32 vcc_lo, s2, s1
	s_sub_i32 s0, s0, s8
	v_add_co_ci_u32_e32 v5, vcc_lo, 0, v5, vcc_lo
	v_cmp_gt_i32_e32 vcc_lo, 31, v10
	v_add_nc_u32_e32 v1, s0, v1
	v_cndmask_b32_e32 v14, 0x7c00, v14, vcc_lo
	v_cmp_gt_i32_e32 vcc_lo, 31, v15
	v_cndmask_b32_e32 v5, 0x7c00, v5, vcc_lo
	v_cmp_eq_u32_e32 vcc_lo, 0x40f, v10
	v_lshrrev_b32_e32 v10, 16, v13
	v_cndmask_b32_e32 v3, v14, v3, vcc_lo
	v_cmp_eq_u32_e32 vcc_lo, 0x40f, v15
	v_and_or_b32 v3, 0x8000, v11, v3
	v_cndmask_b32_e32 v5, v5, v12, vcc_lo
	v_and_b32_e32 v3, 0xffff, v3
	v_and_or_b32 v5, 0x8000, v10, v5
	v_lshl_or_b32 v3, v5, 16, v3
	v_lshrrev_b32_e32 v5, 16, v4
	global_store_dword v[0:1], v3, off
	global_load_dword v3, v[42:43], off offset:456
	s_waitcnt vmcnt(0)
	v_mul_f16_sdwa v10, v5, v3 dst_sel:DWORD dst_unused:UNUSED_PAD src0_sel:DWORD src1_sel:WORD_1
	v_mul_f16_sdwa v11, v4, v3 dst_sel:DWORD dst_unused:UNUSED_PAD src0_sel:DWORD src1_sel:WORD_1
	v_fmac_f16_e32 v10, v4, v3
	v_fma_f16 v3, v3, v5, -v11
	v_cvt_f32_f16_e32 v4, v10
	v_cvt_f32_f16_e32 v5, v3
	v_cvt_f64_f32_e32 v[3:4], v4
	v_cvt_f64_f32_e32 v[10:11], v5
	v_mul_f64 v[3:4], v[3:4], s[4:5]
	v_mul_f64 v[10:11], v[10:11], s[4:5]
	v_and_or_b32 v3, 0x1ff, v4, v3
	v_and_or_b32 v10, 0x1ff, v11, v10
	v_lshrrev_b32_e32 v5, 8, v4
	v_bfe_u32 v12, v4, 20, 11
	v_lshrrev_b32_e32 v13, 8, v11
	v_cmp_ne_u32_e32 vcc_lo, 0, v3
	v_bfe_u32 v14, v11, 20, 11
	v_lshrrev_b32_e32 v4, 16, v4
	v_sub_nc_u32_e32 v15, 0x3f1, v12
	v_add_nc_u32_e32 v12, 0xfffffc10, v12
	v_cndmask_b32_e64 v3, 0, 1, vcc_lo
	v_cmp_ne_u32_e32 vcc_lo, 0, v10
	v_lshrrev_b32_e32 v11, 16, v11
	v_and_or_b32 v3, 0xffe, v5, v3
	v_cndmask_b32_e64 v10, 0, 1, vcc_lo
	v_sub_nc_u32_e32 v5, 0x3f1, v14
	v_add_nc_u32_e32 v14, 0xfffffc10, v14
	v_and_or_b32 v10, 0xffe, v13, v10
	v_med3_i32 v13, v15, 0, 13
	v_or_b32_e32 v15, 0x1000, v3
	v_med3_i32 v5, v5, 0, 13
	v_or_b32_e32 v16, 0x1000, v10
	v_lshrrev_b32_e32 v17, v13, v15
	v_lshrrev_b32_e32 v18, v5, v16
	v_lshlrev_b32_e32 v13, v13, v17
	v_lshlrev_b32_e32 v5, v5, v18
	v_cmp_ne_u32_e32 vcc_lo, v13, v15
	v_lshl_or_b32 v15, v12, 12, v3
	v_cndmask_b32_e64 v13, 0, 1, vcc_lo
	v_cmp_ne_u32_e32 vcc_lo, v5, v16
	v_lshl_or_b32 v16, v14, 12, v10
	v_or_b32_e32 v13, v17, v13
	v_cndmask_b32_e64 v5, 0, 1, vcc_lo
	v_cmp_gt_i32_e32 vcc_lo, 1, v12
	v_or_b32_e32 v5, v18, v5
	v_cndmask_b32_e32 v13, v15, v13, vcc_lo
	v_cmp_gt_i32_e32 vcc_lo, 1, v14
	v_and_b32_e32 v15, 7, v13
	v_cndmask_b32_e32 v5, v16, v5, vcc_lo
	v_cmp_ne_u32_e32 vcc_lo, 0, v3
	v_lshrrev_b32_e32 v13, 2, v13
	v_cmp_eq_u32_e64 s0, 3, v15
	v_and_b32_e32 v16, 7, v5
	v_cndmask_b32_e64 v3, 0, 1, vcc_lo
	v_cmp_ne_u32_e32 vcc_lo, 0, v10
	v_lshrrev_b32_e32 v5, 2, v5
	v_cmp_lt_i32_e64 s1, 5, v16
	v_cmp_eq_u32_e64 s2, 3, v16
	v_cndmask_b32_e64 v10, 0, 1, vcc_lo
	v_cmp_lt_i32_e32 vcc_lo, 5, v15
	v_lshl_or_b32 v3, v3, 9, 0x7c00
	v_lshl_or_b32 v10, v10, 9, 0x7c00
	s_or_b32 vcc_lo, s0, vcc_lo
	v_add_co_ci_u32_e32 v13, vcc_lo, 0, v13, vcc_lo
	s_or_b32 vcc_lo, s2, s1
	v_add_co_ci_u32_e32 v5, vcc_lo, 0, v5, vcc_lo
	v_cmp_gt_i32_e32 vcc_lo, 31, v12
	v_cndmask_b32_e32 v13, 0x7c00, v13, vcc_lo
	v_cmp_gt_i32_e32 vcc_lo, 31, v14
	v_cndmask_b32_e32 v5, 0x7c00, v5, vcc_lo
	v_cmp_eq_u32_e32 vcc_lo, 0x40f, v12
	v_cndmask_b32_e32 v3, v13, v3, vcc_lo
	v_cmp_eq_u32_e32 vcc_lo, 0x40f, v14
	v_and_or_b32 v3, 0x8000, v4, v3
	v_cndmask_b32_e32 v5, v5, v10, vcc_lo
	v_add_co_u32 v0, vcc_lo, v0, s6
	v_add_co_ci_u32_e32 v1, vcc_lo, s7, v1, vcc_lo
	v_and_or_b32 v4, 0x8000, v11, v5
	v_and_b32_e32 v3, 0xffff, v3
	v_lshl_or_b32 v3, v4, 16, v3
	global_store_dword v[0:1], v3, off
	global_load_dword v5, v[42:43], off offset:756
	ds_read2_b32 v[3:4], v9 offset0:61 offset1:136
	s_waitcnt lgkmcnt(0)
	v_lshrrev_b32_e32 v9, 16, v3
	s_waitcnt vmcnt(0)
	v_mul_f16_sdwa v10, v9, v5 dst_sel:DWORD dst_unused:UNUSED_PAD src0_sel:DWORD src1_sel:WORD_1
	v_mul_f16_sdwa v11, v3, v5 dst_sel:DWORD dst_unused:UNUSED_PAD src0_sel:DWORD src1_sel:WORD_1
	v_fmac_f16_e32 v10, v3, v5
	v_fma_f16 v3, v5, v9, -v11
	v_cvt_f32_f16_e32 v5, v10
	v_cvt_f32_f16_e32 v3, v3
	v_cvt_f64_f32_e32 v[9:10], v5
	v_cvt_f64_f32_e32 v[11:12], v3
	v_mul_f64 v[9:10], v[9:10], s[4:5]
	v_mul_f64 v[11:12], v[11:12], s[4:5]
	v_and_or_b32 v3, 0x1ff, v10, v9
	v_and_or_b32 v11, 0x1ff, v12, v11
	v_lshrrev_b32_e32 v5, 8, v10
	v_bfe_u32 v9, v10, 20, 11
	v_lshrrev_b32_e32 v13, 8, v12
	v_cmp_ne_u32_e32 vcc_lo, 0, v3
	v_bfe_u32 v14, v12, 20, 11
	v_lshrrev_b32_e32 v10, 16, v10
	v_sub_nc_u32_e32 v15, 0x3f1, v9
	v_add_nc_u32_e32 v9, 0xfffffc10, v9
	v_cndmask_b32_e64 v3, 0, 1, vcc_lo
	v_cmp_ne_u32_e32 vcc_lo, 0, v11
	v_and_or_b32 v3, 0xffe, v5, v3
	v_cndmask_b32_e64 v11, 0, 1, vcc_lo
	v_sub_nc_u32_e32 v5, 0x3f1, v14
	v_add_nc_u32_e32 v14, 0xfffffc10, v14
	v_and_or_b32 v11, 0xffe, v13, v11
	v_med3_i32 v13, v15, 0, 13
	v_or_b32_e32 v15, 0x1000, v3
	v_med3_i32 v5, v5, 0, 13
	v_or_b32_e32 v16, 0x1000, v11
	v_lshrrev_b32_e32 v17, v13, v15
	v_lshrrev_b32_e32 v18, v5, v16
	v_lshlrev_b32_e32 v13, v13, v17
	v_lshlrev_b32_e32 v5, v5, v18
	v_cmp_ne_u32_e32 vcc_lo, v13, v15
	v_lshl_or_b32 v15, v9, 12, v3
	v_cndmask_b32_e64 v13, 0, 1, vcc_lo
	v_cmp_ne_u32_e32 vcc_lo, v5, v16
	v_lshl_or_b32 v16, v14, 12, v11
	v_or_b32_e32 v13, v17, v13
	v_cndmask_b32_e64 v5, 0, 1, vcc_lo
	v_cmp_gt_i32_e32 vcc_lo, 1, v9
	v_or_b32_e32 v5, v18, v5
	v_cndmask_b32_e32 v13, v15, v13, vcc_lo
	v_cmp_gt_i32_e32 vcc_lo, 1, v14
	v_and_b32_e32 v15, 7, v13
	v_cndmask_b32_e32 v5, v16, v5, vcc_lo
	v_cmp_ne_u32_e32 vcc_lo, 0, v3
	v_lshrrev_b32_e32 v13, 2, v13
	v_cmp_eq_u32_e64 s0, 3, v15
	v_and_b32_e32 v16, 7, v5
	v_cndmask_b32_e64 v3, 0, 1, vcc_lo
	v_cmp_ne_u32_e32 vcc_lo, 0, v11
	v_lshrrev_b32_e32 v5, 2, v5
	v_cmp_lt_i32_e64 s1, 5, v16
	v_cmp_eq_u32_e64 s2, 3, v16
	v_cndmask_b32_e64 v11, 0, 1, vcc_lo
	v_cmp_lt_i32_e32 vcc_lo, 5, v15
	v_lshl_or_b32 v3, v3, 9, 0x7c00
	v_lshl_or_b32 v11, v11, 9, 0x7c00
	s_or_b32 vcc_lo, s0, vcc_lo
	v_add_co_ci_u32_e32 v13, vcc_lo, 0, v13, vcc_lo
	s_or_b32 vcc_lo, s2, s1
	v_add_co_ci_u32_e32 v5, vcc_lo, 0, v5, vcc_lo
	v_cmp_gt_i32_e32 vcc_lo, 31, v9
	v_cndmask_b32_e32 v13, 0x7c00, v13, vcc_lo
	v_cmp_gt_i32_e32 vcc_lo, 31, v14
	v_cndmask_b32_e32 v5, 0x7c00, v5, vcc_lo
	v_cmp_eq_u32_e32 vcc_lo, 0x40f, v9
	v_lshrrev_b32_e32 v9, 16, v12
	v_cndmask_b32_e32 v3, v13, v3, vcc_lo
	v_cmp_eq_u32_e32 vcc_lo, 0x40f, v14
	v_and_or_b32 v3, 0x8000, v10, v3
	v_cndmask_b32_e32 v5, v5, v11, vcc_lo
	v_add_co_u32 v0, vcc_lo, v0, s6
	v_add_co_ci_u32_e32 v1, vcc_lo, s7, v1, vcc_lo
	v_and_or_b32 v5, 0x8000, v9, v5
	v_and_b32_e32 v3, 0xffff, v3
	v_lshl_or_b32 v3, v5, 16, v3
	v_lshrrev_b32_e32 v5, 16, v4
	global_store_dword v[0:1], v3, off
	global_load_dword v3, v[42:43], off offset:1056
	s_waitcnt vmcnt(0)
	v_mul_f16_sdwa v9, v5, v3 dst_sel:DWORD dst_unused:UNUSED_PAD src0_sel:DWORD src1_sel:WORD_1
	v_mul_f16_sdwa v10, v4, v3 dst_sel:DWORD dst_unused:UNUSED_PAD src0_sel:DWORD src1_sel:WORD_1
	v_fmac_f16_e32 v9, v4, v3
	v_fma_f16 v3, v3, v5, -v10
	v_cvt_f32_f16_e32 v4, v9
	v_cvt_f32_f16_e32 v5, v3
	v_cvt_f64_f32_e32 v[3:4], v4
	v_cvt_f64_f32_e32 v[9:10], v5
	v_mul_f64 v[3:4], v[3:4], s[4:5]
	v_mul_f64 v[9:10], v[9:10], s[4:5]
	v_and_or_b32 v3, 0x1ff, v4, v3
	v_and_or_b32 v9, 0x1ff, v10, v9
	v_lshrrev_b32_e32 v5, 8, v4
	v_bfe_u32 v11, v4, 20, 11
	v_lshrrev_b32_e32 v12, 8, v10
	v_cmp_ne_u32_e32 vcc_lo, 0, v3
	v_bfe_u32 v13, v10, 20, 11
	v_lshrrev_b32_e32 v4, 16, v4
	v_sub_nc_u32_e32 v14, 0x3f1, v11
	v_add_nc_u32_e32 v11, 0xfffffc10, v11
	v_cndmask_b32_e64 v3, 0, 1, vcc_lo
	v_cmp_ne_u32_e32 vcc_lo, 0, v9
	v_lshrrev_b32_e32 v10, 16, v10
	v_and_or_b32 v3, 0xffe, v5, v3
	v_cndmask_b32_e64 v9, 0, 1, vcc_lo
	v_sub_nc_u32_e32 v5, 0x3f1, v13
	v_add_nc_u32_e32 v13, 0xfffffc10, v13
	v_and_or_b32 v9, 0xffe, v12, v9
	v_med3_i32 v12, v14, 0, 13
	v_or_b32_e32 v14, 0x1000, v3
	v_med3_i32 v5, v5, 0, 13
	v_or_b32_e32 v15, 0x1000, v9
	v_lshrrev_b32_e32 v16, v12, v14
	v_lshrrev_b32_e32 v17, v5, v15
	v_lshlrev_b32_e32 v12, v12, v16
	v_lshlrev_b32_e32 v5, v5, v17
	v_cmp_ne_u32_e32 vcc_lo, v12, v14
	v_lshl_or_b32 v14, v11, 12, v3
	v_cndmask_b32_e64 v12, 0, 1, vcc_lo
	v_cmp_ne_u32_e32 vcc_lo, v5, v15
	v_lshl_or_b32 v15, v13, 12, v9
	v_or_b32_e32 v12, v16, v12
	v_cndmask_b32_e64 v5, 0, 1, vcc_lo
	v_cmp_gt_i32_e32 vcc_lo, 1, v11
	v_or_b32_e32 v5, v17, v5
	v_cndmask_b32_e32 v12, v14, v12, vcc_lo
	v_cmp_gt_i32_e32 vcc_lo, 1, v13
	v_and_b32_e32 v14, 7, v12
	v_cndmask_b32_e32 v5, v15, v5, vcc_lo
	v_cmp_ne_u32_e32 vcc_lo, 0, v3
	v_lshrrev_b32_e32 v12, 2, v12
	v_cmp_eq_u32_e64 s0, 3, v14
	v_and_b32_e32 v15, 7, v5
	v_cndmask_b32_e64 v3, 0, 1, vcc_lo
	v_cmp_ne_u32_e32 vcc_lo, 0, v9
	v_lshrrev_b32_e32 v5, 2, v5
	v_cmp_lt_i32_e64 s1, 5, v15
	v_cmp_eq_u32_e64 s2, 3, v15
	v_cndmask_b32_e64 v9, 0, 1, vcc_lo
	v_cmp_lt_i32_e32 vcc_lo, 5, v14
	v_lshl_or_b32 v3, v3, 9, 0x7c00
	v_lshl_or_b32 v9, v9, 9, 0x7c00
	s_or_b32 vcc_lo, s0, vcc_lo
	v_add_co_ci_u32_e32 v12, vcc_lo, 0, v12, vcc_lo
	s_or_b32 vcc_lo, s2, s1
	v_add_co_ci_u32_e32 v5, vcc_lo, 0, v5, vcc_lo
	v_cmp_gt_i32_e32 vcc_lo, 31, v11
	v_cndmask_b32_e32 v12, 0x7c00, v12, vcc_lo
	v_cmp_gt_i32_e32 vcc_lo, 31, v13
	v_cndmask_b32_e32 v5, 0x7c00, v5, vcc_lo
	v_cmp_eq_u32_e32 vcc_lo, 0x40f, v11
	v_cndmask_b32_e32 v3, v12, v3, vcc_lo
	v_cmp_eq_u32_e32 vcc_lo, 0x40f, v13
	v_and_or_b32 v3, 0x8000, v4, v3
	v_cndmask_b32_e32 v5, v5, v9, vcc_lo
	v_add_co_u32 v0, vcc_lo, v0, s6
	v_add_co_ci_u32_e32 v1, vcc_lo, s7, v1, vcc_lo
	v_and_or_b32 v4, 0x8000, v10, v5
	v_and_b32_e32 v3, 0xffff, v3
	v_lshl_or_b32 v3, v4, 16, v3
	global_store_dword v[0:1], v3, off
	global_load_dword v5, v[42:43], off offset:1356
	ds_read2_b32 v[3:4], v8 offset0:83 offset1:158
	s_waitcnt lgkmcnt(0)
	v_lshrrev_b32_e32 v8, 16, v3
	s_waitcnt vmcnt(0)
	v_mul_f16_sdwa v9, v8, v5 dst_sel:DWORD dst_unused:UNUSED_PAD src0_sel:DWORD src1_sel:WORD_1
	v_mul_f16_sdwa v10, v3, v5 dst_sel:DWORD dst_unused:UNUSED_PAD src0_sel:DWORD src1_sel:WORD_1
	v_fmac_f16_e32 v9, v3, v5
	v_fma_f16 v3, v5, v8, -v10
	v_cvt_f32_f16_e32 v5, v9
	v_cvt_f32_f16_e32 v3, v3
	v_cvt_f64_f32_e32 v[8:9], v5
	v_cvt_f64_f32_e32 v[10:11], v3
	v_mul_f64 v[8:9], v[8:9], s[4:5]
	v_mul_f64 v[10:11], v[10:11], s[4:5]
	v_and_or_b32 v3, 0x1ff, v9, v8
	v_and_or_b32 v10, 0x1ff, v11, v10
	v_lshrrev_b32_e32 v5, 8, v9
	v_bfe_u32 v8, v9, 20, 11
	v_lshrrev_b32_e32 v12, 8, v11
	v_cmp_ne_u32_e32 vcc_lo, 0, v3
	v_bfe_u32 v13, v11, 20, 11
	v_lshrrev_b32_e32 v9, 16, v9
	v_sub_nc_u32_e32 v14, 0x3f1, v8
	v_add_nc_u32_e32 v8, 0xfffffc10, v8
	v_cndmask_b32_e64 v3, 0, 1, vcc_lo
	v_cmp_ne_u32_e32 vcc_lo, 0, v10
	v_and_or_b32 v3, 0xffe, v5, v3
	v_cndmask_b32_e64 v10, 0, 1, vcc_lo
	v_sub_nc_u32_e32 v5, 0x3f1, v13
	v_add_nc_u32_e32 v13, 0xfffffc10, v13
	v_and_or_b32 v10, 0xffe, v12, v10
	v_med3_i32 v12, v14, 0, 13
	v_or_b32_e32 v14, 0x1000, v3
	v_med3_i32 v5, v5, 0, 13
	v_or_b32_e32 v15, 0x1000, v10
	v_lshrrev_b32_e32 v16, v12, v14
	v_lshrrev_b32_e32 v17, v5, v15
	v_lshlrev_b32_e32 v12, v12, v16
	v_lshlrev_b32_e32 v5, v5, v17
	v_cmp_ne_u32_e32 vcc_lo, v12, v14
	v_lshl_or_b32 v14, v8, 12, v3
	v_cndmask_b32_e64 v12, 0, 1, vcc_lo
	v_cmp_ne_u32_e32 vcc_lo, v5, v15
	v_lshl_or_b32 v15, v13, 12, v10
	v_or_b32_e32 v12, v16, v12
	v_cndmask_b32_e64 v5, 0, 1, vcc_lo
	v_cmp_gt_i32_e32 vcc_lo, 1, v8
	v_or_b32_e32 v5, v17, v5
	v_cndmask_b32_e32 v12, v14, v12, vcc_lo
	v_cmp_gt_i32_e32 vcc_lo, 1, v13
	v_and_b32_e32 v14, 7, v12
	v_cndmask_b32_e32 v5, v15, v5, vcc_lo
	v_cmp_ne_u32_e32 vcc_lo, 0, v3
	v_lshrrev_b32_e32 v12, 2, v12
	v_cmp_eq_u32_e64 s0, 3, v14
	v_and_b32_e32 v15, 7, v5
	v_cndmask_b32_e64 v3, 0, 1, vcc_lo
	v_cmp_ne_u32_e32 vcc_lo, 0, v10
	v_lshrrev_b32_e32 v5, 2, v5
	v_cmp_lt_i32_e64 s1, 5, v15
	v_cmp_eq_u32_e64 s2, 3, v15
	v_cndmask_b32_e64 v10, 0, 1, vcc_lo
	v_cmp_lt_i32_e32 vcc_lo, 5, v14
	v_lshl_or_b32 v3, v3, 9, 0x7c00
	v_lshl_or_b32 v10, v10, 9, 0x7c00
	s_or_b32 vcc_lo, s0, vcc_lo
	v_add_co_ci_u32_e32 v12, vcc_lo, 0, v12, vcc_lo
	s_or_b32 vcc_lo, s2, s1
	v_add_co_ci_u32_e32 v5, vcc_lo, 0, v5, vcc_lo
	v_cmp_gt_i32_e32 vcc_lo, 31, v8
	v_cndmask_b32_e32 v12, 0x7c00, v12, vcc_lo
	v_cmp_gt_i32_e32 vcc_lo, 31, v13
	v_cndmask_b32_e32 v5, 0x7c00, v5, vcc_lo
	v_cmp_eq_u32_e32 vcc_lo, 0x40f, v8
	v_lshrrev_b32_e32 v8, 16, v11
	v_cndmask_b32_e32 v3, v12, v3, vcc_lo
	v_cmp_eq_u32_e32 vcc_lo, 0x40f, v13
	v_and_or_b32 v3, 0x8000, v9, v3
	v_cndmask_b32_e32 v5, v5, v10, vcc_lo
	v_add_co_u32 v0, vcc_lo, v0, s6
	v_add_co_ci_u32_e32 v1, vcc_lo, s7, v1, vcc_lo
	v_and_or_b32 v5, 0x8000, v8, v5
	v_and_b32_e32 v3, 0xffff, v3
	v_lshl_or_b32 v3, v5, 16, v3
	v_lshrrev_b32_e32 v5, 16, v4
	global_store_dword v[0:1], v3, off
	global_load_dword v3, v[42:43], off offset:1656
	s_waitcnt vmcnt(0)
	v_mul_f16_sdwa v8, v5, v3 dst_sel:DWORD dst_unused:UNUSED_PAD src0_sel:DWORD src1_sel:WORD_1
	v_mul_f16_sdwa v9, v4, v3 dst_sel:DWORD dst_unused:UNUSED_PAD src0_sel:DWORD src1_sel:WORD_1
	v_fmac_f16_e32 v8, v4, v3
	v_fma_f16 v3, v3, v5, -v9
	v_cvt_f32_f16_e32 v4, v8
	v_cvt_f32_f16_e32 v5, v3
	v_cvt_f64_f32_e32 v[3:4], v4
	v_cvt_f64_f32_e32 v[8:9], v5
	v_mul_f64 v[3:4], v[3:4], s[4:5]
	v_mul_f64 v[8:9], v[8:9], s[4:5]
	v_and_or_b32 v3, 0x1ff, v4, v3
	v_and_or_b32 v8, 0x1ff, v9, v8
	v_lshrrev_b32_e32 v5, 8, v4
	v_bfe_u32 v10, v4, 20, 11
	v_lshrrev_b32_e32 v11, 8, v9
	v_cmp_ne_u32_e32 vcc_lo, 0, v3
	v_bfe_u32 v12, v9, 20, 11
	v_lshrrev_b32_e32 v4, 16, v4
	v_sub_nc_u32_e32 v13, 0x3f1, v10
	v_add_nc_u32_e32 v10, 0xfffffc10, v10
	v_cndmask_b32_e64 v3, 0, 1, vcc_lo
	v_cmp_ne_u32_e32 vcc_lo, 0, v8
	v_lshrrev_b32_e32 v9, 16, v9
	v_and_or_b32 v3, 0xffe, v5, v3
	v_cndmask_b32_e64 v8, 0, 1, vcc_lo
	v_sub_nc_u32_e32 v5, 0x3f1, v12
	v_add_nc_u32_e32 v12, 0xfffffc10, v12
	v_and_or_b32 v8, 0xffe, v11, v8
	v_med3_i32 v11, v13, 0, 13
	v_or_b32_e32 v13, 0x1000, v3
	v_med3_i32 v5, v5, 0, 13
	v_or_b32_e32 v14, 0x1000, v8
	v_lshrrev_b32_e32 v15, v11, v13
	v_lshrrev_b32_e32 v16, v5, v14
	v_lshlrev_b32_e32 v11, v11, v15
	v_lshlrev_b32_e32 v5, v5, v16
	v_cmp_ne_u32_e32 vcc_lo, v11, v13
	v_lshl_or_b32 v13, v10, 12, v3
	v_cndmask_b32_e64 v11, 0, 1, vcc_lo
	v_cmp_ne_u32_e32 vcc_lo, v5, v14
	v_lshl_or_b32 v14, v12, 12, v8
	v_or_b32_e32 v11, v15, v11
	v_cndmask_b32_e64 v5, 0, 1, vcc_lo
	v_cmp_gt_i32_e32 vcc_lo, 1, v10
	v_or_b32_e32 v5, v16, v5
	v_cndmask_b32_e32 v11, v13, v11, vcc_lo
	v_cmp_gt_i32_e32 vcc_lo, 1, v12
	v_and_b32_e32 v13, 7, v11
	v_cndmask_b32_e32 v5, v14, v5, vcc_lo
	v_cmp_ne_u32_e32 vcc_lo, 0, v3
	v_lshrrev_b32_e32 v11, 2, v11
	v_cmp_eq_u32_e64 s0, 3, v13
	v_and_b32_e32 v14, 7, v5
	v_cndmask_b32_e64 v3, 0, 1, vcc_lo
	v_cmp_ne_u32_e32 vcc_lo, 0, v8
	v_lshrrev_b32_e32 v5, 2, v5
	v_cmp_lt_i32_e64 s1, 5, v14
	v_cmp_eq_u32_e64 s2, 3, v14
	v_cndmask_b32_e64 v8, 0, 1, vcc_lo
	v_cmp_lt_i32_e32 vcc_lo, 5, v13
	v_lshl_or_b32 v3, v3, 9, 0x7c00
	v_lshl_or_b32 v8, v8, 9, 0x7c00
	s_or_b32 vcc_lo, s0, vcc_lo
	v_add_co_ci_u32_e32 v11, vcc_lo, 0, v11, vcc_lo
	s_or_b32 vcc_lo, s2, s1
	v_add_co_ci_u32_e32 v5, vcc_lo, 0, v5, vcc_lo
	v_cmp_gt_i32_e32 vcc_lo, 31, v10
	v_cndmask_b32_e32 v11, 0x7c00, v11, vcc_lo
	v_cmp_gt_i32_e32 vcc_lo, 31, v12
	v_cndmask_b32_e32 v5, 0x7c00, v5, vcc_lo
	v_cmp_eq_u32_e32 vcc_lo, 0x40f, v10
	v_cndmask_b32_e32 v3, v11, v3, vcc_lo
	v_cmp_eq_u32_e32 vcc_lo, 0x40f, v12
	v_and_or_b32 v3, 0x8000, v4, v3
	v_cndmask_b32_e32 v5, v5, v8, vcc_lo
	v_add_co_u32 v0, vcc_lo, v0, s6
	v_add_co_ci_u32_e32 v1, vcc_lo, s7, v1, vcc_lo
	v_and_or_b32 v4, 0x8000, v9, v5
	v_and_b32_e32 v3, 0xffff, v3
	v_lshl_or_b32 v3, v4, 16, v3
	global_store_dword v[0:1], v3, off
	global_load_dword v4, v[42:43], off offset:1956
	ds_read2_b32 v[2:3], v2 offset0:105 offset1:180
	s_waitcnt lgkmcnt(0)
	v_lshrrev_b32_e32 v5, 16, v2
	s_waitcnt vmcnt(0)
	v_mul_f16_sdwa v8, v5, v4 dst_sel:DWORD dst_unused:UNUSED_PAD src0_sel:DWORD src1_sel:WORD_1
	v_mul_f16_sdwa v9, v2, v4 dst_sel:DWORD dst_unused:UNUSED_PAD src0_sel:DWORD src1_sel:WORD_1
	v_fmac_f16_e32 v8, v2, v4
	v_fma_f16 v2, v4, v5, -v9
	v_cvt_f32_f16_e32 v4, v8
	v_cvt_f32_f16_e32 v2, v2
	v_cvt_f64_f32_e32 v[4:5], v4
	v_cvt_f64_f32_e32 v[8:9], v2
	v_mul_f64 v[4:5], v[4:5], s[4:5]
	v_mul_f64 v[8:9], v[8:9], s[4:5]
	v_and_or_b32 v2, 0x1ff, v5, v4
	v_and_or_b32 v8, 0x1ff, v9, v8
	v_lshrrev_b32_e32 v4, 8, v5
	v_bfe_u32 v10, v5, 20, 11
	v_lshrrev_b32_e32 v11, 8, v9
	v_cmp_ne_u32_e32 vcc_lo, 0, v2
	v_bfe_u32 v12, v9, 20, 11
	v_lshrrev_b32_e32 v5, 16, v5
	v_sub_nc_u32_e32 v13, 0x3f1, v10
	v_add_nc_u32_e32 v10, 0xfffffc10, v10
	v_cndmask_b32_e64 v2, 0, 1, vcc_lo
	v_cmp_ne_u32_e32 vcc_lo, 0, v8
	v_lshrrev_b32_e32 v9, 16, v9
	v_and_or_b32 v2, 0xffe, v4, v2
	v_cndmask_b32_e64 v8, 0, 1, vcc_lo
	v_sub_nc_u32_e32 v4, 0x3f1, v12
	v_add_nc_u32_e32 v12, 0xfffffc10, v12
	v_and_or_b32 v8, 0xffe, v11, v8
	v_med3_i32 v11, v13, 0, 13
	v_or_b32_e32 v13, 0x1000, v2
	v_med3_i32 v4, v4, 0, 13
	v_or_b32_e32 v14, 0x1000, v8
	v_lshrrev_b32_e32 v15, v11, v13
	v_lshrrev_b32_e32 v16, v4, v14
	v_lshlrev_b32_e32 v11, v11, v15
	v_lshlrev_b32_e32 v4, v4, v16
	v_cmp_ne_u32_e32 vcc_lo, v11, v13
	v_lshl_or_b32 v13, v10, 12, v2
	v_cndmask_b32_e64 v11, 0, 1, vcc_lo
	v_cmp_ne_u32_e32 vcc_lo, v4, v14
	v_lshl_or_b32 v14, v12, 12, v8
	v_or_b32_e32 v11, v15, v11
	v_cndmask_b32_e64 v4, 0, 1, vcc_lo
	v_cmp_gt_i32_e32 vcc_lo, 1, v10
	v_or_b32_e32 v4, v16, v4
	v_cndmask_b32_e32 v11, v13, v11, vcc_lo
	v_cmp_gt_i32_e32 vcc_lo, 1, v12
	v_and_b32_e32 v13, 7, v11
	v_cndmask_b32_e32 v4, v14, v4, vcc_lo
	v_cmp_ne_u32_e32 vcc_lo, 0, v2
	v_lshrrev_b32_e32 v11, 2, v11
	v_cmp_eq_u32_e64 s0, 3, v13
	v_and_b32_e32 v14, 7, v4
	v_cndmask_b32_e64 v2, 0, 1, vcc_lo
	v_cmp_ne_u32_e32 vcc_lo, 0, v8
	v_lshrrev_b32_e32 v4, 2, v4
	v_cmp_lt_i32_e64 s1, 5, v14
	v_cmp_eq_u32_e64 s2, 3, v14
	v_cndmask_b32_e64 v8, 0, 1, vcc_lo
	v_cmp_lt_i32_e32 vcc_lo, 5, v13
	v_lshl_or_b32 v2, v2, 9, 0x7c00
	v_lshl_or_b32 v8, v8, 9, 0x7c00
	s_or_b32 vcc_lo, s0, vcc_lo
	v_add_co_ci_u32_e32 v11, vcc_lo, 0, v11, vcc_lo
	s_or_b32 vcc_lo, s2, s1
	v_add_co_ci_u32_e32 v4, vcc_lo, 0, v4, vcc_lo
	v_cmp_gt_i32_e32 vcc_lo, 31, v10
	v_cndmask_b32_e32 v11, 0x7c00, v11, vcc_lo
	v_cmp_gt_i32_e32 vcc_lo, 31, v12
	v_cndmask_b32_e32 v4, 0x7c00, v4, vcc_lo
	v_cmp_eq_u32_e32 vcc_lo, 0x40f, v10
	v_cndmask_b32_e32 v2, v11, v2, vcc_lo
	v_cmp_eq_u32_e32 vcc_lo, 0x40f, v12
	v_and_or_b32 v2, 0x8000, v5, v2
	v_cndmask_b32_e32 v4, v4, v8, vcc_lo
	v_add_co_u32 v0, vcc_lo, v0, s6
	v_add_co_ci_u32_e32 v1, vcc_lo, s7, v1, vcc_lo
	v_and_or_b32 v4, 0x8000, v9, v4
	v_and_b32_e32 v2, 0xffff, v2
	v_lshl_or_b32 v2, v4, 16, v2
	v_lshrrev_b32_e32 v4, 16, v3
	global_store_dword v[0:1], v2, off
	global_load_dword v2, v[40:41], off offset:208
	s_waitcnt vmcnt(0)
	v_mul_f16_sdwa v5, v4, v2 dst_sel:DWORD dst_unused:UNUSED_PAD src0_sel:DWORD src1_sel:WORD_1
	v_mul_f16_sdwa v8, v3, v2 dst_sel:DWORD dst_unused:UNUSED_PAD src0_sel:DWORD src1_sel:WORD_1
	v_fmac_f16_e32 v5, v3, v2
	v_fma_f16 v2, v2, v4, -v8
	v_cvt_f32_f16_e32 v3, v5
	v_cvt_f32_f16_e32 v4, v2
	v_cvt_f64_f32_e32 v[2:3], v3
	v_cvt_f64_f32_e32 v[4:5], v4
	v_mul_f64 v[2:3], v[2:3], s[4:5]
	v_mul_f64 v[4:5], v[4:5], s[4:5]
	v_and_or_b32 v2, 0x1ff, v3, v2
	v_and_or_b32 v4, 0x1ff, v5, v4
	v_lshrrev_b32_e32 v8, 8, v3
	v_bfe_u32 v9, v3, 20, 11
	v_lshrrev_b32_e32 v10, 8, v5
	v_cmp_ne_u32_e32 vcc_lo, 0, v2
	v_bfe_u32 v11, v5, 20, 11
	v_lshrrev_b32_e32 v3, 16, v3
	v_sub_nc_u32_e32 v12, 0x3f1, v9
	v_add_nc_u32_e32 v9, 0xfffffc10, v9
	v_cndmask_b32_e64 v2, 0, 1, vcc_lo
	v_cmp_ne_u32_e32 vcc_lo, 0, v4
	v_lshrrev_b32_e32 v5, 16, v5
	v_and_or_b32 v2, 0xffe, v8, v2
	v_cndmask_b32_e64 v4, 0, 1, vcc_lo
	v_sub_nc_u32_e32 v8, 0x3f1, v11
	v_add_nc_u32_e32 v11, 0xfffffc10, v11
	v_and_or_b32 v4, 0xffe, v10, v4
	v_med3_i32 v10, v12, 0, 13
	v_or_b32_e32 v12, 0x1000, v2
	v_med3_i32 v8, v8, 0, 13
	v_or_b32_e32 v13, 0x1000, v4
	v_lshrrev_b32_e32 v14, v10, v12
	v_lshrrev_b32_e32 v15, v8, v13
	v_lshlrev_b32_e32 v10, v10, v14
	v_lshlrev_b32_e32 v8, v8, v15
	v_cmp_ne_u32_e32 vcc_lo, v10, v12
	v_lshl_or_b32 v12, v9, 12, v2
	v_cndmask_b32_e64 v10, 0, 1, vcc_lo
	v_cmp_ne_u32_e32 vcc_lo, v8, v13
	v_lshl_or_b32 v13, v11, 12, v4
	v_or_b32_e32 v10, v14, v10
	v_cndmask_b32_e64 v8, 0, 1, vcc_lo
	v_cmp_gt_i32_e32 vcc_lo, 1, v9
	v_or_b32_e32 v8, v15, v8
	v_cndmask_b32_e32 v10, v12, v10, vcc_lo
	v_cmp_gt_i32_e32 vcc_lo, 1, v11
	v_and_b32_e32 v12, 7, v10
	v_cndmask_b32_e32 v8, v13, v8, vcc_lo
	v_cmp_ne_u32_e32 vcc_lo, 0, v2
	v_lshrrev_b32_e32 v10, 2, v10
	v_cmp_eq_u32_e64 s0, 3, v12
	v_and_b32_e32 v13, 7, v8
	v_cndmask_b32_e64 v2, 0, 1, vcc_lo
	v_cmp_ne_u32_e32 vcc_lo, 0, v4
	v_lshrrev_b32_e32 v8, 2, v8
	v_cmp_lt_i32_e64 s1, 5, v13
	v_cmp_eq_u32_e64 s2, 3, v13
	v_cndmask_b32_e64 v4, 0, 1, vcc_lo
	v_cmp_lt_i32_e32 vcc_lo, 5, v12
	v_lshl_or_b32 v2, v2, 9, 0x7c00
	v_lshl_or_b32 v4, v4, 9, 0x7c00
	s_or_b32 vcc_lo, s0, vcc_lo
	v_add_co_ci_u32_e32 v10, vcc_lo, 0, v10, vcc_lo
	s_or_b32 vcc_lo, s2, s1
	v_add_co_ci_u32_e32 v8, vcc_lo, 0, v8, vcc_lo
	v_cmp_gt_i32_e32 vcc_lo, 31, v9
	v_cndmask_b32_e32 v10, 0x7c00, v10, vcc_lo
	v_cmp_gt_i32_e32 vcc_lo, 31, v11
	v_cndmask_b32_e32 v8, 0x7c00, v8, vcc_lo
	v_cmp_eq_u32_e32 vcc_lo, 0x40f, v9
	v_cndmask_b32_e32 v2, v10, v2, vcc_lo
	v_cmp_eq_u32_e32 vcc_lo, 0x40f, v11
	v_and_or_b32 v2, 0x8000, v3, v2
	v_cndmask_b32_e32 v4, v8, v4, vcc_lo
	v_add_co_u32 v0, vcc_lo, v0, s6
	v_add_co_ci_u32_e32 v1, vcc_lo, s7, v1, vcc_lo
	v_and_or_b32 v3, 0x8000, v5, v4
	v_and_b32_e32 v2, 0xffff, v2
	v_lshl_or_b32 v2, v3, 16, v2
	global_store_dword v[0:1], v2, off
	global_load_dword v4, v[40:41], off offset:508
	ds_read2_b32 v[2:3], v7 offset0:127 offset1:202
	s_waitcnt lgkmcnt(0)
	v_lshrrev_b32_e32 v5, 16, v2
	s_waitcnt vmcnt(0)
	v_mul_f16_sdwa v7, v5, v4 dst_sel:DWORD dst_unused:UNUSED_PAD src0_sel:DWORD src1_sel:WORD_1
	v_mul_f16_sdwa v8, v2, v4 dst_sel:DWORD dst_unused:UNUSED_PAD src0_sel:DWORD src1_sel:WORD_1
	v_fmac_f16_e32 v7, v2, v4
	v_fma_f16 v2, v4, v5, -v8
	v_cvt_f32_f16_e32 v4, v7
	v_cvt_f32_f16_e32 v2, v2
	v_cvt_f64_f32_e32 v[4:5], v4
	v_cvt_f64_f32_e32 v[7:8], v2
	v_mul_f64 v[4:5], v[4:5], s[4:5]
	v_mul_f64 v[7:8], v[7:8], s[4:5]
	v_and_or_b32 v2, 0x1ff, v5, v4
	v_and_or_b32 v7, 0x1ff, v8, v7
	v_lshrrev_b32_e32 v4, 8, v5
	v_bfe_u32 v9, v5, 20, 11
	v_lshrrev_b32_e32 v10, 8, v8
	v_cmp_ne_u32_e32 vcc_lo, 0, v2
	v_bfe_u32 v11, v8, 20, 11
	v_lshrrev_b32_e32 v5, 16, v5
	v_sub_nc_u32_e32 v12, 0x3f1, v9
	v_add_nc_u32_e32 v9, 0xfffffc10, v9
	v_cndmask_b32_e64 v2, 0, 1, vcc_lo
	v_cmp_ne_u32_e32 vcc_lo, 0, v7
	v_lshrrev_b32_e32 v8, 16, v8
	v_and_or_b32 v2, 0xffe, v4, v2
	v_cndmask_b32_e64 v7, 0, 1, vcc_lo
	v_sub_nc_u32_e32 v4, 0x3f1, v11
	v_add_nc_u32_e32 v11, 0xfffffc10, v11
	v_and_or_b32 v7, 0xffe, v10, v7
	v_med3_i32 v10, v12, 0, 13
	v_or_b32_e32 v12, 0x1000, v2
	v_med3_i32 v4, v4, 0, 13
	v_or_b32_e32 v13, 0x1000, v7
	v_lshrrev_b32_e32 v14, v10, v12
	v_lshrrev_b32_e32 v15, v4, v13
	v_lshlrev_b32_e32 v10, v10, v14
	v_lshlrev_b32_e32 v4, v4, v15
	v_cmp_ne_u32_e32 vcc_lo, v10, v12
	v_lshl_or_b32 v12, v9, 12, v2
	v_cndmask_b32_e64 v10, 0, 1, vcc_lo
	v_cmp_ne_u32_e32 vcc_lo, v4, v13
	v_lshl_or_b32 v13, v11, 12, v7
	v_or_b32_e32 v10, v14, v10
	v_cndmask_b32_e64 v4, 0, 1, vcc_lo
	v_cmp_gt_i32_e32 vcc_lo, 1, v9
	v_or_b32_e32 v4, v15, v4
	v_cndmask_b32_e32 v10, v12, v10, vcc_lo
	v_cmp_gt_i32_e32 vcc_lo, 1, v11
	v_and_b32_e32 v12, 7, v10
	v_cndmask_b32_e32 v4, v13, v4, vcc_lo
	v_cmp_ne_u32_e32 vcc_lo, 0, v2
	v_lshrrev_b32_e32 v10, 2, v10
	v_cmp_eq_u32_e64 s0, 3, v12
	v_and_b32_e32 v13, 7, v4
	v_cndmask_b32_e64 v2, 0, 1, vcc_lo
	v_cmp_ne_u32_e32 vcc_lo, 0, v7
	v_lshrrev_b32_e32 v4, 2, v4
	v_cmp_lt_i32_e64 s1, 5, v13
	v_cmp_eq_u32_e64 s2, 3, v13
	v_cndmask_b32_e64 v7, 0, 1, vcc_lo
	v_cmp_lt_i32_e32 vcc_lo, 5, v12
	v_lshl_or_b32 v2, v2, 9, 0x7c00
	v_lshl_or_b32 v7, v7, 9, 0x7c00
	s_or_b32 vcc_lo, s0, vcc_lo
	v_add_co_ci_u32_e32 v10, vcc_lo, 0, v10, vcc_lo
	s_or_b32 vcc_lo, s2, s1
	v_add_co_ci_u32_e32 v4, vcc_lo, 0, v4, vcc_lo
	v_cmp_gt_i32_e32 vcc_lo, 31, v9
	v_cndmask_b32_e32 v10, 0x7c00, v10, vcc_lo
	v_cmp_gt_i32_e32 vcc_lo, 31, v11
	v_cndmask_b32_e32 v4, 0x7c00, v4, vcc_lo
	v_cmp_eq_u32_e32 vcc_lo, 0x40f, v9
	v_cndmask_b32_e32 v2, v10, v2, vcc_lo
	v_cmp_eq_u32_e32 vcc_lo, 0x40f, v11
	v_and_or_b32 v2, 0x8000, v5, v2
	v_cndmask_b32_e32 v4, v4, v7, vcc_lo
	v_add_co_u32 v0, vcc_lo, v0, s6
	v_add_co_ci_u32_e32 v1, vcc_lo, s7, v1, vcc_lo
	v_and_or_b32 v4, 0x8000, v8, v4
	v_and_b32_e32 v2, 0xffff, v2
	v_lshl_or_b32 v2, v4, 16, v2
	v_lshrrev_b32_e32 v4, 16, v3
	global_store_dword v[0:1], v2, off
	global_load_dword v2, v[40:41], off offset:808
	s_waitcnt vmcnt(0)
	v_mul_f16_sdwa v5, v4, v2 dst_sel:DWORD dst_unused:UNUSED_PAD src0_sel:DWORD src1_sel:WORD_1
	v_mul_f16_sdwa v7, v3, v2 dst_sel:DWORD dst_unused:UNUSED_PAD src0_sel:DWORD src1_sel:WORD_1
	v_fmac_f16_e32 v5, v3, v2
	v_fma_f16 v2, v2, v4, -v7
	v_cvt_f32_f16_e32 v3, v5
	v_cvt_f32_f16_e32 v4, v2
	v_cvt_f64_f32_e32 v[2:3], v3
	v_cvt_f64_f32_e32 v[4:5], v4
	v_mul_f64 v[2:3], v[2:3], s[4:5]
	v_mul_f64 v[4:5], v[4:5], s[4:5]
	v_and_or_b32 v2, 0x1ff, v3, v2
	v_and_or_b32 v4, 0x1ff, v5, v4
	v_lshrrev_b32_e32 v7, 8, v3
	v_bfe_u32 v8, v3, 20, 11
	v_lshrrev_b32_e32 v9, 8, v5
	v_cmp_ne_u32_e32 vcc_lo, 0, v2
	v_bfe_u32 v10, v5, 20, 11
	v_lshrrev_b32_e32 v3, 16, v3
	v_sub_nc_u32_e32 v11, 0x3f1, v8
	v_add_nc_u32_e32 v8, 0xfffffc10, v8
	v_cndmask_b32_e64 v2, 0, 1, vcc_lo
	v_cmp_ne_u32_e32 vcc_lo, 0, v4
	v_lshrrev_b32_e32 v5, 16, v5
	v_and_or_b32 v2, 0xffe, v7, v2
	v_cndmask_b32_e64 v4, 0, 1, vcc_lo
	v_sub_nc_u32_e32 v7, 0x3f1, v10
	v_add_nc_u32_e32 v10, 0xfffffc10, v10
	v_and_or_b32 v4, 0xffe, v9, v4
	v_med3_i32 v9, v11, 0, 13
	v_or_b32_e32 v11, 0x1000, v2
	v_med3_i32 v7, v7, 0, 13
	v_or_b32_e32 v12, 0x1000, v4
	v_lshrrev_b32_e32 v13, v9, v11
	v_lshrrev_b32_e32 v14, v7, v12
	v_lshlrev_b32_e32 v9, v9, v13
	v_lshlrev_b32_e32 v7, v7, v14
	v_cmp_ne_u32_e32 vcc_lo, v9, v11
	v_lshl_or_b32 v11, v8, 12, v2
	v_cndmask_b32_e64 v9, 0, 1, vcc_lo
	v_cmp_ne_u32_e32 vcc_lo, v7, v12
	v_lshl_or_b32 v12, v10, 12, v4
	v_or_b32_e32 v9, v13, v9
	v_cndmask_b32_e64 v7, 0, 1, vcc_lo
	v_cmp_gt_i32_e32 vcc_lo, 1, v8
	v_or_b32_e32 v7, v14, v7
	v_cndmask_b32_e32 v9, v11, v9, vcc_lo
	v_cmp_gt_i32_e32 vcc_lo, 1, v10
	v_and_b32_e32 v11, 7, v9
	v_cndmask_b32_e32 v7, v12, v7, vcc_lo
	v_cmp_ne_u32_e32 vcc_lo, 0, v2
	v_lshrrev_b32_e32 v9, 2, v9
	v_cmp_eq_u32_e64 s0, 3, v11
	v_and_b32_e32 v12, 7, v7
	v_cndmask_b32_e64 v2, 0, 1, vcc_lo
	v_cmp_ne_u32_e32 vcc_lo, 0, v4
	v_lshrrev_b32_e32 v7, 2, v7
	v_cmp_lt_i32_e64 s1, 5, v12
	v_cmp_eq_u32_e64 s2, 3, v12
	v_cndmask_b32_e64 v4, 0, 1, vcc_lo
	v_cmp_lt_i32_e32 vcc_lo, 5, v11
	v_lshl_or_b32 v2, v2, 9, 0x7c00
	v_lshl_or_b32 v4, v4, 9, 0x7c00
	s_or_b32 vcc_lo, s0, vcc_lo
	v_add_co_ci_u32_e32 v9, vcc_lo, 0, v9, vcc_lo
	s_or_b32 vcc_lo, s2, s1
	v_add_co_ci_u32_e32 v7, vcc_lo, 0, v7, vcc_lo
	v_cmp_gt_i32_e32 vcc_lo, 31, v8
	v_cndmask_b32_e32 v9, 0x7c00, v9, vcc_lo
	v_cmp_gt_i32_e32 vcc_lo, 31, v10
	v_cndmask_b32_e32 v7, 0x7c00, v7, vcc_lo
	v_cmp_eq_u32_e32 vcc_lo, 0x40f, v8
	v_cndmask_b32_e32 v2, v9, v2, vcc_lo
	v_cmp_eq_u32_e32 vcc_lo, 0x40f, v10
	v_and_or_b32 v2, 0x8000, v3, v2
	v_cndmask_b32_e32 v4, v7, v4, vcc_lo
	v_add_co_u32 v0, vcc_lo, v0, s6
	v_add_co_ci_u32_e32 v1, vcc_lo, s7, v1, vcc_lo
	v_and_or_b32 v3, 0x8000, v5, v4
	v_and_b32_e32 v2, 0xffff, v2
	v_lshl_or_b32 v2, v3, 16, v2
	global_store_dword v[0:1], v2, off
	global_load_dword v4, v[40:41], off offset:1108
	ds_read2_b32 v[2:3], v6 offset0:21 offset1:96
	s_waitcnt lgkmcnt(0)
	v_lshrrev_b32_e32 v5, 16, v2
	s_waitcnt vmcnt(0)
	v_mul_f16_sdwa v6, v5, v4 dst_sel:DWORD dst_unused:UNUSED_PAD src0_sel:DWORD src1_sel:WORD_1
	v_mul_f16_sdwa v7, v2, v4 dst_sel:DWORD dst_unused:UNUSED_PAD src0_sel:DWORD src1_sel:WORD_1
	v_fmac_f16_e32 v6, v2, v4
	v_fma_f16 v2, v4, v5, -v7
	v_cvt_f32_f16_e32 v4, v6
	v_cvt_f32_f16_e32 v2, v2
	v_cvt_f64_f32_e32 v[4:5], v4
	v_cvt_f64_f32_e32 v[6:7], v2
	v_mul_f64 v[4:5], v[4:5], s[4:5]
	v_mul_f64 v[6:7], v[6:7], s[4:5]
	v_and_or_b32 v2, 0x1ff, v5, v4
	v_and_or_b32 v6, 0x1ff, v7, v6
	v_lshrrev_b32_e32 v4, 8, v5
	v_bfe_u32 v8, v5, 20, 11
	v_lshrrev_b32_e32 v9, 8, v7
	v_cmp_ne_u32_e32 vcc_lo, 0, v2
	v_bfe_u32 v10, v7, 20, 11
	v_lshrrev_b32_e32 v5, 16, v5
	v_sub_nc_u32_e32 v11, 0x3f1, v8
	v_add_nc_u32_e32 v8, 0xfffffc10, v8
	v_cndmask_b32_e64 v2, 0, 1, vcc_lo
	v_cmp_ne_u32_e32 vcc_lo, 0, v6
	v_lshrrev_b32_e32 v7, 16, v7
	v_and_or_b32 v2, 0xffe, v4, v2
	v_cndmask_b32_e64 v6, 0, 1, vcc_lo
	v_sub_nc_u32_e32 v4, 0x3f1, v10
	v_add_nc_u32_e32 v10, 0xfffffc10, v10
	v_and_or_b32 v6, 0xffe, v9, v6
	v_med3_i32 v9, v11, 0, 13
	v_or_b32_e32 v11, 0x1000, v2
	v_med3_i32 v4, v4, 0, 13
	v_or_b32_e32 v12, 0x1000, v6
	v_lshrrev_b32_e32 v13, v9, v11
	v_lshrrev_b32_e32 v14, v4, v12
	v_lshlrev_b32_e32 v9, v9, v13
	v_lshlrev_b32_e32 v4, v4, v14
	v_cmp_ne_u32_e32 vcc_lo, v9, v11
	v_lshl_or_b32 v11, v8, 12, v2
	v_cndmask_b32_e64 v9, 0, 1, vcc_lo
	v_cmp_ne_u32_e32 vcc_lo, v4, v12
	v_lshl_or_b32 v12, v10, 12, v6
	v_or_b32_e32 v9, v13, v9
	v_cndmask_b32_e64 v4, 0, 1, vcc_lo
	v_cmp_gt_i32_e32 vcc_lo, 1, v8
	v_or_b32_e32 v4, v14, v4
	v_cndmask_b32_e32 v9, v11, v9, vcc_lo
	v_cmp_gt_i32_e32 vcc_lo, 1, v10
	v_and_b32_e32 v11, 7, v9
	v_cndmask_b32_e32 v4, v12, v4, vcc_lo
	v_cmp_ne_u32_e32 vcc_lo, 0, v2
	v_lshrrev_b32_e32 v9, 2, v9
	v_cmp_eq_u32_e64 s0, 3, v11
	v_and_b32_e32 v12, 7, v4
	v_cndmask_b32_e64 v2, 0, 1, vcc_lo
	v_cmp_ne_u32_e32 vcc_lo, 0, v6
	v_lshrrev_b32_e32 v4, 2, v4
	v_cmp_lt_i32_e64 s1, 5, v12
	v_cmp_eq_u32_e64 s2, 3, v12
	v_cndmask_b32_e64 v6, 0, 1, vcc_lo
	v_cmp_lt_i32_e32 vcc_lo, 5, v11
	v_lshl_or_b32 v2, v2, 9, 0x7c00
	v_lshl_or_b32 v6, v6, 9, 0x7c00
	s_or_b32 vcc_lo, s0, vcc_lo
	v_add_co_ci_u32_e32 v9, vcc_lo, 0, v9, vcc_lo
	s_or_b32 vcc_lo, s2, s1
	v_add_co_ci_u32_e32 v4, vcc_lo, 0, v4, vcc_lo
	v_cmp_gt_i32_e32 vcc_lo, 31, v8
	v_cndmask_b32_e32 v9, 0x7c00, v9, vcc_lo
	v_cmp_gt_i32_e32 vcc_lo, 31, v10
	v_cndmask_b32_e32 v4, 0x7c00, v4, vcc_lo
	v_cmp_eq_u32_e32 vcc_lo, 0x40f, v8
	v_cndmask_b32_e32 v2, v9, v2, vcc_lo
	v_cmp_eq_u32_e32 vcc_lo, 0x40f, v10
	v_and_or_b32 v2, 0x8000, v5, v2
	v_cndmask_b32_e32 v4, v4, v6, vcc_lo
	v_add_co_u32 v0, vcc_lo, v0, s6
	v_add_co_ci_u32_e32 v1, vcc_lo, s7, v1, vcc_lo
	v_and_or_b32 v4, 0x8000, v7, v4
	v_and_b32_e32 v2, 0xffff, v2
	v_lshl_or_b32 v2, v4, 16, v2
	v_lshrrev_b32_e32 v4, 16, v3
	global_store_dword v[0:1], v2, off
	global_load_dword v2, v[40:41], off offset:1408
	s_waitcnt vmcnt(0)
	v_mul_f16_sdwa v5, v4, v2 dst_sel:DWORD dst_unused:UNUSED_PAD src0_sel:DWORD src1_sel:WORD_1
	v_mul_f16_sdwa v6, v3, v2 dst_sel:DWORD dst_unused:UNUSED_PAD src0_sel:DWORD src1_sel:WORD_1
	v_fmac_f16_e32 v5, v3, v2
	v_fma_f16 v2, v2, v4, -v6
	v_cvt_f32_f16_e32 v3, v5
	v_cvt_f32_f16_e32 v4, v2
	v_cvt_f64_f32_e32 v[2:3], v3
	v_cvt_f64_f32_e32 v[4:5], v4
	v_mul_f64 v[2:3], v[2:3], s[4:5]
	v_mul_f64 v[4:5], v[4:5], s[4:5]
	v_and_or_b32 v2, 0x1ff, v3, v2
	v_and_or_b32 v4, 0x1ff, v5, v4
	v_lshrrev_b32_e32 v6, 8, v3
	v_bfe_u32 v7, v3, 20, 11
	v_lshrrev_b32_e32 v8, 8, v5
	v_cmp_ne_u32_e32 vcc_lo, 0, v2
	v_bfe_u32 v9, v5, 20, 11
	v_lshrrev_b32_e32 v3, 16, v3
	v_sub_nc_u32_e32 v10, 0x3f1, v7
	v_add_nc_u32_e32 v7, 0xfffffc10, v7
	v_cndmask_b32_e64 v2, 0, 1, vcc_lo
	v_cmp_ne_u32_e32 vcc_lo, 0, v4
	v_lshrrev_b32_e32 v5, 16, v5
	v_and_or_b32 v2, 0xffe, v6, v2
	v_cndmask_b32_e64 v4, 0, 1, vcc_lo
	v_sub_nc_u32_e32 v6, 0x3f1, v9
	v_add_nc_u32_e32 v9, 0xfffffc10, v9
	v_and_or_b32 v4, 0xffe, v8, v4
	v_med3_i32 v8, v10, 0, 13
	v_or_b32_e32 v10, 0x1000, v2
	v_med3_i32 v6, v6, 0, 13
	v_or_b32_e32 v11, 0x1000, v4
	v_lshrrev_b32_e32 v12, v8, v10
	v_lshrrev_b32_e32 v13, v6, v11
	v_lshlrev_b32_e32 v8, v8, v12
	v_lshlrev_b32_e32 v6, v6, v13
	v_cmp_ne_u32_e32 vcc_lo, v8, v10
	v_lshl_or_b32 v10, v7, 12, v2
	v_cndmask_b32_e64 v8, 0, 1, vcc_lo
	v_cmp_ne_u32_e32 vcc_lo, v6, v11
	v_lshl_or_b32 v11, v9, 12, v4
	v_or_b32_e32 v8, v12, v8
	v_cndmask_b32_e64 v6, 0, 1, vcc_lo
	v_cmp_gt_i32_e32 vcc_lo, 1, v7
	v_or_b32_e32 v6, v13, v6
	v_cndmask_b32_e32 v8, v10, v8, vcc_lo
	v_cmp_gt_i32_e32 vcc_lo, 1, v9
	v_and_b32_e32 v10, 7, v8
	v_cndmask_b32_e32 v6, v11, v6, vcc_lo
	v_cmp_ne_u32_e32 vcc_lo, 0, v2
	v_lshrrev_b32_e32 v8, 2, v8
	v_cmp_eq_u32_e64 s0, 3, v10
	v_and_b32_e32 v11, 7, v6
	v_cndmask_b32_e64 v2, 0, 1, vcc_lo
	v_cmp_ne_u32_e32 vcc_lo, 0, v4
	v_lshrrev_b32_e32 v6, 2, v6
	v_cmp_lt_i32_e64 s1, 5, v11
	v_cmp_eq_u32_e64 s2, 3, v11
	v_cndmask_b32_e64 v4, 0, 1, vcc_lo
	v_cmp_lt_i32_e32 vcc_lo, 5, v10
	v_lshl_or_b32 v2, v2, 9, 0x7c00
	v_lshl_or_b32 v4, v4, 9, 0x7c00
	s_or_b32 vcc_lo, s0, vcc_lo
	v_add_co_ci_u32_e32 v8, vcc_lo, 0, v8, vcc_lo
	s_or_b32 vcc_lo, s2, s1
	v_add_co_ci_u32_e32 v6, vcc_lo, 0, v6, vcc_lo
	v_cmp_gt_i32_e32 vcc_lo, 31, v7
	v_cndmask_b32_e32 v8, 0x7c00, v8, vcc_lo
	v_cmp_gt_i32_e32 vcc_lo, 31, v9
	v_cndmask_b32_e32 v6, 0x7c00, v6, vcc_lo
	v_cmp_eq_u32_e32 vcc_lo, 0x40f, v7
	v_cndmask_b32_e32 v2, v8, v2, vcc_lo
	v_cmp_eq_u32_e32 vcc_lo, 0x40f, v9
	v_and_or_b32 v2, 0x8000, v3, v2
	v_cndmask_b32_e32 v4, v6, v4, vcc_lo
	v_add_co_u32 v0, vcc_lo, v0, s6
	v_add_co_ci_u32_e32 v1, vcc_lo, s7, v1, vcc_lo
	v_and_or_b32 v3, 0x8000, v5, v4
	v_and_b32_e32 v2, 0xffff, v2
	v_lshl_or_b32 v2, v3, 16, v2
	ds_read_b32 v3, v90 offset:3756
	global_store_dword v[0:1], v2, off
	global_load_dword v2, v[40:41], off offset:1708
	s_waitcnt lgkmcnt(0)
	v_lshrrev_b32_e32 v4, 16, v3
	s_waitcnt vmcnt(0)
	v_mul_f16_sdwa v5, v4, v2 dst_sel:DWORD dst_unused:UNUSED_PAD src0_sel:DWORD src1_sel:WORD_1
	v_mul_f16_sdwa v6, v3, v2 dst_sel:DWORD dst_unused:UNUSED_PAD src0_sel:DWORD src1_sel:WORD_1
	v_fmac_f16_e32 v5, v3, v2
	v_fma_f16 v2, v2, v4, -v6
	v_cvt_f32_f16_e32 v3, v5
	v_cvt_f32_f16_e32 v4, v2
	v_cvt_f64_f32_e32 v[2:3], v3
	v_cvt_f64_f32_e32 v[4:5], v4
	v_mul_f64 v[2:3], v[2:3], s[4:5]
	v_mul_f64 v[4:5], v[4:5], s[4:5]
	v_and_or_b32 v2, 0x1ff, v3, v2
	v_and_or_b32 v4, 0x1ff, v5, v4
	v_lshrrev_b32_e32 v6, 8, v3
	v_bfe_u32 v7, v3, 20, 11
	v_lshrrev_b32_e32 v8, 8, v5
	v_cmp_ne_u32_e32 vcc_lo, 0, v2
	v_bfe_u32 v9, v5, 20, 11
	v_lshrrev_b32_e32 v3, 16, v3
	v_sub_nc_u32_e32 v10, 0x3f1, v7
	v_add_nc_u32_e32 v7, 0xfffffc10, v7
	v_cndmask_b32_e64 v2, 0, 1, vcc_lo
	v_cmp_ne_u32_e32 vcc_lo, 0, v4
	v_lshrrev_b32_e32 v5, 16, v5
	v_and_or_b32 v2, 0xffe, v6, v2
	v_cndmask_b32_e64 v4, 0, 1, vcc_lo
	v_sub_nc_u32_e32 v6, 0x3f1, v9
	v_add_nc_u32_e32 v9, 0xfffffc10, v9
	v_and_or_b32 v4, 0xffe, v8, v4
	v_med3_i32 v8, v10, 0, 13
	v_or_b32_e32 v10, 0x1000, v2
	v_med3_i32 v6, v6, 0, 13
	v_or_b32_e32 v11, 0x1000, v4
	v_lshrrev_b32_e32 v12, v8, v10
	v_lshrrev_b32_e32 v13, v6, v11
	v_lshlrev_b32_e32 v8, v8, v12
	v_lshlrev_b32_e32 v6, v6, v13
	v_cmp_ne_u32_e32 vcc_lo, v8, v10
	v_lshl_or_b32 v10, v7, 12, v2
	v_cndmask_b32_e64 v8, 0, 1, vcc_lo
	v_cmp_ne_u32_e32 vcc_lo, v6, v11
	v_lshl_or_b32 v11, v9, 12, v4
	v_or_b32_e32 v8, v12, v8
	v_cndmask_b32_e64 v6, 0, 1, vcc_lo
	v_cmp_gt_i32_e32 vcc_lo, 1, v7
	v_or_b32_e32 v6, v13, v6
	v_cndmask_b32_e32 v8, v10, v8, vcc_lo
	v_cmp_gt_i32_e32 vcc_lo, 1, v9
	v_and_b32_e32 v10, 7, v8
	v_cndmask_b32_e32 v6, v11, v6, vcc_lo
	v_cmp_ne_u32_e32 vcc_lo, 0, v2
	v_lshrrev_b32_e32 v8, 2, v8
	v_cmp_eq_u32_e64 s0, 3, v10
	v_and_b32_e32 v11, 7, v6
	v_cndmask_b32_e64 v2, 0, 1, vcc_lo
	v_cmp_ne_u32_e32 vcc_lo, 0, v4
	v_lshrrev_b32_e32 v6, 2, v6
	v_cmp_lt_i32_e64 s1, 5, v11
	v_cmp_eq_u32_e64 s2, 3, v11
	v_cndmask_b32_e64 v4, 0, 1, vcc_lo
	v_cmp_lt_i32_e32 vcc_lo, 5, v10
	v_lshl_or_b32 v2, v2, 9, 0x7c00
	v_lshl_or_b32 v4, v4, 9, 0x7c00
	s_or_b32 vcc_lo, s0, vcc_lo
	v_add_co_ci_u32_e32 v8, vcc_lo, 0, v8, vcc_lo
	s_or_b32 vcc_lo, s2, s1
	v_add_co_ci_u32_e32 v6, vcc_lo, 0, v6, vcc_lo
	v_cmp_gt_i32_e32 vcc_lo, 31, v7
	v_cndmask_b32_e32 v8, 0x7c00, v8, vcc_lo
	v_cmp_gt_i32_e32 vcc_lo, 31, v9
	v_cndmask_b32_e32 v6, 0x7c00, v6, vcc_lo
	v_cmp_eq_u32_e32 vcc_lo, 0x40f, v7
	v_cndmask_b32_e32 v2, v8, v2, vcc_lo
	v_cmp_eq_u32_e32 vcc_lo, 0x40f, v9
	v_and_or_b32 v2, 0x8000, v3, v2
	v_cndmask_b32_e32 v4, v6, v4, vcc_lo
	v_add_co_u32 v0, vcc_lo, v0, s6
	v_add_co_ci_u32_e32 v1, vcc_lo, s7, v1, vcc_lo
	v_and_or_b32 v3, 0x8000, v5, v4
	v_and_b32_e32 v2, 0xffff, v2
	v_lshl_or_b32 v2, v3, 16, v2
	global_store_dword v[0:1], v2, off
.LBB0_23:
	s_endpgm
	.section	.rodata,"a",@progbits
	.p2align	6, 0x0
	.amdhsa_kernel bluestein_single_fwd_len975_dim1_half_op_CI_CI
		.amdhsa_group_segment_fixed_size 11700
		.amdhsa_private_segment_fixed_size 0
		.amdhsa_kernarg_size 104
		.amdhsa_user_sgpr_count 6
		.amdhsa_user_sgpr_private_segment_buffer 1
		.amdhsa_user_sgpr_dispatch_ptr 0
		.amdhsa_user_sgpr_queue_ptr 0
		.amdhsa_user_sgpr_kernarg_segment_ptr 1
		.amdhsa_user_sgpr_dispatch_id 0
		.amdhsa_user_sgpr_flat_scratch_init 0
		.amdhsa_user_sgpr_private_segment_size 0
		.amdhsa_wavefront_size32 1
		.amdhsa_uses_dynamic_stack 0
		.amdhsa_system_sgpr_private_segment_wavefront_offset 0
		.amdhsa_system_sgpr_workgroup_id_x 1
		.amdhsa_system_sgpr_workgroup_id_y 0
		.amdhsa_system_sgpr_workgroup_id_z 0
		.amdhsa_system_sgpr_workgroup_info 0
		.amdhsa_system_vgpr_workitem_id 0
		.amdhsa_next_free_vgpr 232
		.amdhsa_next_free_sgpr 16
		.amdhsa_reserve_vcc 1
		.amdhsa_reserve_flat_scratch 0
		.amdhsa_float_round_mode_32 0
		.amdhsa_float_round_mode_16_64 0
		.amdhsa_float_denorm_mode_32 3
		.amdhsa_float_denorm_mode_16_64 3
		.amdhsa_dx10_clamp 1
		.amdhsa_ieee_mode 1
		.amdhsa_fp16_overflow 0
		.amdhsa_workgroup_processor_mode 1
		.amdhsa_memory_ordered 1
		.amdhsa_forward_progress 0
		.amdhsa_shared_vgpr_count 0
		.amdhsa_exception_fp_ieee_invalid_op 0
		.amdhsa_exception_fp_denorm_src 0
		.amdhsa_exception_fp_ieee_div_zero 0
		.amdhsa_exception_fp_ieee_overflow 0
		.amdhsa_exception_fp_ieee_underflow 0
		.amdhsa_exception_fp_ieee_inexact 0
		.amdhsa_exception_int_div_zero 0
	.end_amdhsa_kernel
	.text
.Lfunc_end0:
	.size	bluestein_single_fwd_len975_dim1_half_op_CI_CI, .Lfunc_end0-bluestein_single_fwd_len975_dim1_half_op_CI_CI
                                        ; -- End function
	.section	.AMDGPU.csdata,"",@progbits
; Kernel info:
; codeLenInByte = 48596
; NumSgprs: 18
; NumVgprs: 232
; ScratchSize: 0
; MemoryBound: 0
; FloatMode: 240
; IeeeMode: 1
; LDSByteSize: 11700 bytes/workgroup (compile time only)
; SGPRBlocks: 2
; VGPRBlocks: 28
; NumSGPRsForWavesPerEU: 18
; NumVGPRsForWavesPerEU: 232
; Occupancy: 4
; WaveLimiterHint : 1
; COMPUTE_PGM_RSRC2:SCRATCH_EN: 0
; COMPUTE_PGM_RSRC2:USER_SGPR: 6
; COMPUTE_PGM_RSRC2:TRAP_HANDLER: 0
; COMPUTE_PGM_RSRC2:TGID_X_EN: 1
; COMPUTE_PGM_RSRC2:TGID_Y_EN: 0
; COMPUTE_PGM_RSRC2:TGID_Z_EN: 0
; COMPUTE_PGM_RSRC2:TIDIG_COMP_CNT: 0
	.text
	.p2alignl 6, 3214868480
	.fill 48, 4, 3214868480
	.type	__hip_cuid_f2432f543ed0c49a,@object ; @__hip_cuid_f2432f543ed0c49a
	.section	.bss,"aw",@nobits
	.globl	__hip_cuid_f2432f543ed0c49a
__hip_cuid_f2432f543ed0c49a:
	.byte	0                               ; 0x0
	.size	__hip_cuid_f2432f543ed0c49a, 1

	.ident	"AMD clang version 19.0.0git (https://github.com/RadeonOpenCompute/llvm-project roc-6.4.0 25133 c7fe45cf4b819c5991fe208aaa96edf142730f1d)"
	.section	".note.GNU-stack","",@progbits
	.addrsig
	.addrsig_sym __hip_cuid_f2432f543ed0c49a
	.amdgpu_metadata
---
amdhsa.kernels:
  - .args:
      - .actual_access:  read_only
        .address_space:  global
        .offset:         0
        .size:           8
        .value_kind:     global_buffer
      - .actual_access:  read_only
        .address_space:  global
        .offset:         8
        .size:           8
        .value_kind:     global_buffer
      - .actual_access:  read_only
        .address_space:  global
        .offset:         16
        .size:           8
        .value_kind:     global_buffer
      - .actual_access:  read_only
        .address_space:  global
        .offset:         24
        .size:           8
        .value_kind:     global_buffer
      - .actual_access:  read_only
        .address_space:  global
        .offset:         32
        .size:           8
        .value_kind:     global_buffer
      - .offset:         40
        .size:           8
        .value_kind:     by_value
      - .address_space:  global
        .offset:         48
        .size:           8
        .value_kind:     global_buffer
      - .address_space:  global
        .offset:         56
        .size:           8
        .value_kind:     global_buffer
      - .address_space:  global
        .offset:         64
        .size:           8
        .value_kind:     global_buffer
      - .address_space:  global
        .offset:         72
        .size:           8
        .value_kind:     global_buffer
      - .offset:         80
        .size:           4
        .value_kind:     by_value
      - .address_space:  global
        .offset:         88
        .size:           8
        .value_kind:     global_buffer
      - .address_space:  global
        .offset:         96
        .size:           8
        .value_kind:     global_buffer
    .group_segment_fixed_size: 11700
    .kernarg_segment_align: 8
    .kernarg_segment_size: 104
    .language:       OpenCL C
    .language_version:
      - 2
      - 0
    .max_flat_workgroup_size: 117
    .name:           bluestein_single_fwd_len975_dim1_half_op_CI_CI
    .private_segment_fixed_size: 0
    .sgpr_count:     18
    .sgpr_spill_count: 0
    .symbol:         bluestein_single_fwd_len975_dim1_half_op_CI_CI.kd
    .uniform_work_group_size: 1
    .uses_dynamic_stack: false
    .vgpr_count:     232
    .vgpr_spill_count: 0
    .wavefront_size: 32
    .workgroup_processor_mode: 1
amdhsa.target:   amdgcn-amd-amdhsa--gfx1030
amdhsa.version:
  - 1
  - 2
...

	.end_amdgpu_metadata
